;; amdgpu-corpus repo=ROCm/rocFFT kind=compiled arch=gfx906 opt=O3
	.text
	.amdgcn_target "amdgcn-amd-amdhsa--gfx906"
	.amdhsa_code_object_version 6
	.protected	fft_rtc_fwd_len1248_factors_2_2_13_2_3_2_2_wgs_52_tpt_52_halfLds_sp_ip_CI_unitstride_sbrr_dirReg ; -- Begin function fft_rtc_fwd_len1248_factors_2_2_13_2_3_2_2_wgs_52_tpt_52_halfLds_sp_ip_CI_unitstride_sbrr_dirReg
	.globl	fft_rtc_fwd_len1248_factors_2_2_13_2_3_2_2_wgs_52_tpt_52_halfLds_sp_ip_CI_unitstride_sbrr_dirReg
	.p2align	8
	.type	fft_rtc_fwd_len1248_factors_2_2_13_2_3_2_2_wgs_52_tpt_52_halfLds_sp_ip_CI_unitstride_sbrr_dirReg,@function
fft_rtc_fwd_len1248_factors_2_2_13_2_3_2_2_wgs_52_tpt_52_halfLds_sp_ip_CI_unitstride_sbrr_dirReg: ; @fft_rtc_fwd_len1248_factors_2_2_13_2_3_2_2_wgs_52_tpt_52_halfLds_sp_ip_CI_unitstride_sbrr_dirReg
; %bb.0:
	s_load_dwordx2 s[12:13], s[4:5], 0x50
	s_load_dwordx4 s[8:11], s[4:5], 0x0
	s_load_dwordx2 s[2:3], s[4:5], 0x18
	v_mul_u32_u24_e32 v1, 0x4ed, v0
	v_add_u32_sdwa v5, s6, v1 dst_sel:DWORD dst_unused:UNUSED_PAD src0_sel:DWORD src1_sel:WORD_1
	v_mov_b32_e32 v3, 0
	s_waitcnt lgkmcnt(0)
	v_cmp_lt_u64_e64 s[0:1], s[10:11], 2
	v_mov_b32_e32 v1, 0
	v_mov_b32_e32 v6, v3
	s_and_b64 vcc, exec, s[0:1]
	v_mov_b32_e32 v2, 0
	s_cbranch_vccnz .LBB0_8
; %bb.1:
	s_load_dwordx2 s[0:1], s[4:5], 0x10
	s_add_u32 s6, s2, 8
	s_addc_u32 s7, s3, 0
	v_mov_b32_e32 v1, 0
	v_mov_b32_e32 v2, 0
	s_waitcnt lgkmcnt(0)
	s_add_u32 s14, s0, 8
	s_addc_u32 s15, s1, 0
	s_mov_b64 s[16:17], 1
.LBB0_2:                                ; =>This Inner Loop Header: Depth=1
	s_load_dwordx2 s[18:19], s[14:15], 0x0
                                        ; implicit-def: $vgpr7_vgpr8
	s_waitcnt lgkmcnt(0)
	v_or_b32_e32 v4, s19, v6
	v_cmp_ne_u64_e32 vcc, 0, v[3:4]
	s_and_saveexec_b64 s[0:1], vcc
	s_xor_b64 s[20:21], exec, s[0:1]
	s_cbranch_execz .LBB0_4
; %bb.3:                                ;   in Loop: Header=BB0_2 Depth=1
	v_cvt_f32_u32_e32 v4, s18
	v_cvt_f32_u32_e32 v7, s19
	s_sub_u32 s0, 0, s18
	s_subb_u32 s1, 0, s19
	v_mac_f32_e32 v4, 0x4f800000, v7
	v_rcp_f32_e32 v4, v4
	v_mul_f32_e32 v4, 0x5f7ffffc, v4
	v_mul_f32_e32 v7, 0x2f800000, v4
	v_trunc_f32_e32 v7, v7
	v_mac_f32_e32 v4, 0xcf800000, v7
	v_cvt_u32_f32_e32 v7, v7
	v_cvt_u32_f32_e32 v4, v4
	v_mul_lo_u32 v8, s0, v7
	v_mul_hi_u32 v9, s0, v4
	v_mul_lo_u32 v11, s1, v4
	v_mul_lo_u32 v10, s0, v4
	v_add_u32_e32 v8, v9, v8
	v_add_u32_e32 v8, v8, v11
	v_mul_hi_u32 v9, v4, v10
	v_mul_lo_u32 v11, v4, v8
	v_mul_hi_u32 v13, v4, v8
	v_mul_hi_u32 v12, v7, v10
	v_mul_lo_u32 v10, v7, v10
	v_mul_hi_u32 v14, v7, v8
	v_add_co_u32_e32 v9, vcc, v9, v11
	v_addc_co_u32_e32 v11, vcc, 0, v13, vcc
	v_mul_lo_u32 v8, v7, v8
	v_add_co_u32_e32 v9, vcc, v9, v10
	v_addc_co_u32_e32 v9, vcc, v11, v12, vcc
	v_addc_co_u32_e32 v10, vcc, 0, v14, vcc
	v_add_co_u32_e32 v8, vcc, v9, v8
	v_addc_co_u32_e32 v9, vcc, 0, v10, vcc
	v_add_co_u32_e32 v4, vcc, v4, v8
	v_addc_co_u32_e32 v7, vcc, v7, v9, vcc
	v_mul_lo_u32 v8, s0, v7
	v_mul_hi_u32 v9, s0, v4
	v_mul_lo_u32 v10, s1, v4
	v_mul_lo_u32 v11, s0, v4
	v_add_u32_e32 v8, v9, v8
	v_add_u32_e32 v8, v8, v10
	v_mul_lo_u32 v12, v4, v8
	v_mul_hi_u32 v13, v4, v11
	v_mul_hi_u32 v14, v4, v8
	;; [unrolled: 1-line block ×3, first 2 shown]
	v_mul_lo_u32 v11, v7, v11
	v_mul_hi_u32 v9, v7, v8
	v_add_co_u32_e32 v12, vcc, v13, v12
	v_addc_co_u32_e32 v13, vcc, 0, v14, vcc
	v_mul_lo_u32 v8, v7, v8
	v_add_co_u32_e32 v11, vcc, v12, v11
	v_addc_co_u32_e32 v10, vcc, v13, v10, vcc
	v_addc_co_u32_e32 v9, vcc, 0, v9, vcc
	v_add_co_u32_e32 v8, vcc, v10, v8
	v_addc_co_u32_e32 v9, vcc, 0, v9, vcc
	v_add_co_u32_e32 v4, vcc, v4, v8
	v_addc_co_u32_e32 v9, vcc, v7, v9, vcc
	v_mad_u64_u32 v[7:8], s[0:1], v5, v9, 0
	v_mul_hi_u32 v10, v5, v4
	v_add_co_u32_e32 v11, vcc, v10, v7
	v_addc_co_u32_e32 v12, vcc, 0, v8, vcc
	v_mad_u64_u32 v[7:8], s[0:1], v6, v4, 0
	v_mad_u64_u32 v[9:10], s[0:1], v6, v9, 0
	v_add_co_u32_e32 v4, vcc, v11, v7
	v_addc_co_u32_e32 v4, vcc, v12, v8, vcc
	v_addc_co_u32_e32 v7, vcc, 0, v10, vcc
	v_add_co_u32_e32 v4, vcc, v4, v9
	v_addc_co_u32_e32 v9, vcc, 0, v7, vcc
	v_mul_lo_u32 v10, s19, v4
	v_mul_lo_u32 v11, s18, v9
	v_mad_u64_u32 v[7:8], s[0:1], s18, v4, 0
	v_add3_u32 v8, v8, v11, v10
	v_sub_u32_e32 v10, v6, v8
	v_mov_b32_e32 v11, s19
	v_sub_co_u32_e32 v7, vcc, v5, v7
	v_subb_co_u32_e64 v10, s[0:1], v10, v11, vcc
	v_subrev_co_u32_e64 v11, s[0:1], s18, v7
	v_subbrev_co_u32_e64 v10, s[0:1], 0, v10, s[0:1]
	v_cmp_le_u32_e64 s[0:1], s19, v10
	v_cndmask_b32_e64 v12, 0, -1, s[0:1]
	v_cmp_le_u32_e64 s[0:1], s18, v11
	v_cndmask_b32_e64 v11, 0, -1, s[0:1]
	v_cmp_eq_u32_e64 s[0:1], s19, v10
	v_cndmask_b32_e64 v10, v12, v11, s[0:1]
	v_add_co_u32_e64 v11, s[0:1], 2, v4
	v_addc_co_u32_e64 v12, s[0:1], 0, v9, s[0:1]
	v_add_co_u32_e64 v13, s[0:1], 1, v4
	v_addc_co_u32_e64 v14, s[0:1], 0, v9, s[0:1]
	v_subb_co_u32_e32 v8, vcc, v6, v8, vcc
	v_cmp_ne_u32_e64 s[0:1], 0, v10
	v_cmp_le_u32_e32 vcc, s19, v8
	v_cndmask_b32_e64 v10, v14, v12, s[0:1]
	v_cndmask_b32_e64 v12, 0, -1, vcc
	v_cmp_le_u32_e32 vcc, s18, v7
	v_cndmask_b32_e64 v7, 0, -1, vcc
	v_cmp_eq_u32_e32 vcc, s19, v8
	v_cndmask_b32_e32 v7, v12, v7, vcc
	v_cmp_ne_u32_e32 vcc, 0, v7
	v_cndmask_b32_e64 v7, v13, v11, s[0:1]
	v_cndmask_b32_e32 v8, v9, v10, vcc
	v_cndmask_b32_e32 v7, v4, v7, vcc
.LBB0_4:                                ;   in Loop: Header=BB0_2 Depth=1
	s_andn2_saveexec_b64 s[0:1], s[20:21]
	s_cbranch_execz .LBB0_6
; %bb.5:                                ;   in Loop: Header=BB0_2 Depth=1
	v_cvt_f32_u32_e32 v4, s18
	s_sub_i32 s20, 0, s18
	v_rcp_iflag_f32_e32 v4, v4
	v_mul_f32_e32 v4, 0x4f7ffffe, v4
	v_cvt_u32_f32_e32 v4, v4
	v_mul_lo_u32 v7, s20, v4
	v_mul_hi_u32 v7, v4, v7
	v_add_u32_e32 v4, v4, v7
	v_mul_hi_u32 v4, v5, v4
	v_mul_lo_u32 v7, v4, s18
	v_add_u32_e32 v8, 1, v4
	v_sub_u32_e32 v7, v5, v7
	v_subrev_u32_e32 v9, s18, v7
	v_cmp_le_u32_e32 vcc, s18, v7
	v_cndmask_b32_e32 v7, v7, v9, vcc
	v_cndmask_b32_e32 v4, v4, v8, vcc
	v_add_u32_e32 v8, 1, v4
	v_cmp_le_u32_e32 vcc, s18, v7
	v_cndmask_b32_e32 v7, v4, v8, vcc
	v_mov_b32_e32 v8, v3
.LBB0_6:                                ;   in Loop: Header=BB0_2 Depth=1
	s_or_b64 exec, exec, s[0:1]
	v_mul_lo_u32 v4, v8, s18
	v_mul_lo_u32 v11, v7, s19
	v_mad_u64_u32 v[9:10], s[0:1], v7, s18, 0
	s_load_dwordx2 s[0:1], s[6:7], 0x0
	s_add_u32 s16, s16, 1
	v_add3_u32 v4, v10, v11, v4
	v_sub_co_u32_e32 v5, vcc, v5, v9
	v_subb_co_u32_e32 v4, vcc, v6, v4, vcc
	s_waitcnt lgkmcnt(0)
	v_mul_lo_u32 v4, s0, v4
	v_mul_lo_u32 v6, s1, v5
	v_mad_u64_u32 v[1:2], s[0:1], s0, v5, v[1:2]
	s_addc_u32 s17, s17, 0
	s_add_u32 s6, s6, 8
	v_add3_u32 v2, v6, v2, v4
	v_mov_b32_e32 v4, s10
	v_mov_b32_e32 v5, s11
	s_addc_u32 s7, s7, 0
	v_cmp_ge_u64_e32 vcc, s[16:17], v[4:5]
	s_add_u32 s14, s14, 8
	s_addc_u32 s15, s15, 0
	s_cbranch_vccnz .LBB0_9
; %bb.7:                                ;   in Loop: Header=BB0_2 Depth=1
	v_mov_b32_e32 v5, v7
	v_mov_b32_e32 v6, v8
	s_branch .LBB0_2
.LBB0_8:
	v_mov_b32_e32 v8, v6
	v_mov_b32_e32 v7, v5
.LBB0_9:
	s_lshl_b64 s[0:1], s[10:11], 3
	s_add_u32 s0, s2, s0
	s_addc_u32 s1, s3, s1
	s_load_dwordx2 s[2:3], s[0:1], 0x0
	s_load_dwordx2 s[6:7], s[4:5], 0x20
	v_mov_b32_e32 v9, 0
	v_mov_b32_e32 v10, 0
	;; [unrolled: 1-line block ×3, first 2 shown]
	s_waitcnt lgkmcnt(0)
	v_mad_u64_u32 v[1:2], s[0:1], s2, v7, v[1:2]
	s_mov_b32 s0, 0x4ec4ec5
	v_mul_lo_u32 v3, s2, v8
	v_mul_lo_u32 v4, s3, v7
	v_mul_hi_u32 v5, v0, s0
	v_cmp_gt_u64_e64 s[0:1], s[6:7], v[7:8]
	v_mov_b32_e32 v7, v9
	v_add3_u32 v2, v4, v2, v3
	v_mul_u32_u24_e32 v3, 52, v5
	v_sub_u32_e32 v0, v0, v3
	v_lshlrev_b64 v[2:3], 3, v[1:2]
	v_mov_b32_e32 v4, v9
	v_mov_b32_e32 v28, v10
	;; [unrolled: 1-line block ×20, first 2 shown]
                                        ; implicit-def: $vgpr24
                                        ; implicit-def: $vgpr46
                                        ; implicit-def: $vgpr42
                                        ; implicit-def: $vgpr22
                                        ; implicit-def: $vgpr14
                                        ; implicit-def: $vgpr32
                                        ; implicit-def: $vgpr36
                                        ; implicit-def: $vgpr40
                                        ; implicit-def: $vgpr38
                                        ; implicit-def: $vgpr44
                                        ; implicit-def: $vgpr54
                                        ; implicit-def: $vgpr58
	s_and_saveexec_b64 s[2:3], s[0:1]
	s_cbranch_execz .LBB0_11
; %bb.10:
	v_mov_b32_e32 v1, 0
	v_mov_b32_e32 v4, s13
	v_add_co_u32_e32 v6, vcc, s12, v2
	v_addc_co_u32_e32 v15, vcc, v4, v3, vcc
	v_lshlrev_b64 v[4:5], 3, v[0:1]
	v_or_b32_e32 v13, 0x340, v0
	v_add_co_u32_e32 v25, vcc, v6, v4
	v_addc_co_u32_e32 v26, vcc, v15, v5, vcc
	v_mov_b32_e32 v14, v1
	v_add_co_u32_e32 v29, vcc, 0x1000, v25
	v_lshlrev_b64 v[13:14], 3, v[13:14]
	v_addc_co_u32_e32 v30, vcc, 0, v26, vcc
	v_add_co_u32_e32 v33, vcc, v6, v13
	v_addc_co_u32_e32 v34, vcc, v15, v14, vcc
	s_movk_i32 s4, 0x2000
	v_add_co_u32_e32 v39, vcc, s4, v25
	v_addc_co_u32_e32 v40, vcc, 0, v26, vcc
	global_load_dwordx2 v[9:10], v[25:26], off
	global_load_dwordx2 v[4:5], v[25:26], off offset:416
	global_load_dwordx2 v[7:8], v[25:26], off offset:832
	;; [unrolled: 1-line block ×13, first 2 shown]
	global_load_dwordx2 v[53:54], v[33:34], off
	global_load_dwordx2 v[13:14], v[29:30], off offset:3808
	global_load_dwordx2 v[47:48], v[25:26], off offset:3328
	;; [unrolled: 1-line block ×8, first 2 shown]
                                        ; kill: killed $vgpr29 killed $vgpr30
                                        ; kill: killed $vgpr33 killed $vgpr34
                                        ; kill: killed $vgpr25 killed $vgpr26
	s_nop 0
	global_load_dwordx2 v[39:40], v[39:40], off offset:1376
.LBB0_11:
	s_or_b64 exec, exec, s[2:3]
	s_waitcnt vmcnt(15)
	v_sub_f32_e32 v60, v10, v24
	v_sub_f32_e32 v25, v9, v23
	v_fma_f32 v59, v10, 2.0, -v60
	s_waitcnt vmcnt(14)
	v_sub_f32_e32 v10, v4, v45
	v_add_u32_e32 v79, 52, v0
	v_fma_f32 v24, v9, 2.0, -v25
	v_fma_f32 v9, v4, 2.0, -v10
	s_waitcnt vmcnt(13)
	v_sub_f32_e32 v30, v7, v41
	v_lshl_add_u32 v23, v79, 3, 0
	v_add_u32_e32 v78, 0x68, v0
	v_fma_f32 v29, v7, 2.0, -v30
	s_waitcnt vmcnt(12)
	v_sub_f32_e32 v7, v11, v57
	ds_write_b64 v23, v[9:10]
	v_lshl_add_u32 v9, v78, 3, 0
	v_add_u32_e32 v77, 0x9c, v0
	v_fma_f32 v6, v11, 2.0, -v7
	ds_write_b64 v9, v[29:30]
	v_lshl_add_u32 v29, v77, 3, 0
	ds_write_b64 v29, v[6:7]
	s_waitcnt vmcnt(11)
	v_sub_f32_e32 v7, v15, v43
	v_add_u32_e32 v74, 0x104, v0
	v_fma_f32 v6, v15, 2.0, -v7
	v_lshl_add_u32 v15, v74, 3, 0
	ds_write_b64 v15, v[6:7]
	s_waitcnt vmcnt(10)
	v_sub_f32_e32 v7, v17, v21
	v_add_u32_e32 v73, 0x138, v0
	v_fma_f32 v6, v17, 2.0, -v7
	;; [unrolled: 6-line block ×3, first 2 shown]
	v_lshl_add_u32 v19, v72, 3, 0
	ds_write_b64 v19, v[6:7]
	s_waitcnt vmcnt(3)
	v_sub_f32_e32 v7, v47, v31
	v_add_u32_e32 v76, 0x1a0, v0
	v_sub_f32_e32 v34, v27, v53
	v_add_u32_e32 v75, 0xd0, v0
	v_fma_f32 v6, v47, 2.0, -v7
	v_lshl_add_u32 v21, v76, 3, 0
	v_fma_f32 v33, v27, 2.0, -v34
	v_lshl_add_u32 v41, v75, 3, 0
	ds_write_b64 v21, v[6:7]
	s_waitcnt vmcnt(2)
	v_sub_f32_e32 v7, v49, v35
	v_add_u32_e32 v70, 0x1d4, v0
	ds_write_b64 v41, v[33:34]
	v_fma_f32 v6, v49, 2.0, -v7
	v_lshl_add_u32 v33, v70, 3, 0
	ds_write_b64 v33, v[6:7]
	s_waitcnt vmcnt(1)
	v_sub_f32_e32 v7, v51, v37
	v_add_u32_e32 v69, 0x208, v0
	v_fma_f32 v6, v51, 2.0, -v7
	v_lshl_add_u32 v37, v69, 3, 0
	ds_write_b64 v37, v[6:7]
	s_waitcnt vmcnt(0)
	v_sub_f32_e32 v7, v55, v39
	v_add_u32_e32 v68, 0x23c, v0
	v_sub_f32_e32 v46, v5, v46
	v_lshl_add_u32 v4, v0, 3, 0
	v_fma_f32 v6, v55, 2.0, -v7
	v_lshl_add_u32 v39, v68, 3, 0
	v_lshl_add_u32 v71, v0, 2, 0
	v_fma_f32 v45, v5, 2.0, -v46
	v_sub_f32_e32 v5, v8, v42
	ds_write_b64 v4, v[24:25]
	ds_write_b64 v39, v[6:7]
	s_waitcnt lgkmcnt(0)
	; wave barrier
	s_waitcnt lgkmcnt(0)
	v_add_u32_e32 v1, 0x800, v71
	v_add_u32_e32 v43, 0xa00, v71
	;; [unrolled: 1-line block ×6, first 2 shown]
	ds_read2_b32 v[84:85], v71 offset1:52
	ds_read2_b32 v[34:35], v1 offset0:112 offset1:164
	ds_read2_b32 v[86:87], v71 offset0:104 offset1:156
	;; [unrolled: 1-line block ×11, first 2 shown]
	s_waitcnt lgkmcnt(0)
	; wave barrier
	s_waitcnt lgkmcnt(0)
	ds_write_b64 v4, v[59:60]
	v_fma_f32 v4, v8, 2.0, -v5
	ds_write_b64 v9, v[4:5]
	v_sub_f32_e32 v5, v12, v58
	v_fma_f32 v4, v12, 2.0, -v5
	ds_write_b64 v29, v[4:5]
	v_sub_f32_e32 v5, v28, v54
	;; [unrolled: 3-line block ×5, first 2 shown]
	v_sub_f32_e32 v13, v50, v36
	v_fma_f32 v4, v20, 2.0, -v5
	v_sub_f32_e32 v9, v48, v32
	v_fma_f32 v12, v50, 2.0, -v13
	v_sub_f32_e32 v15, v52, v38
	v_sub_f32_e32 v17, v56, v40
	ds_write_b64 v23, v[45:46]
	v_fma_f32 v8, v48, 2.0, -v9
	v_fma_f32 v14, v52, 2.0, -v15
	;; [unrolled: 1-line block ×3, first 2 shown]
	ds_write_b64 v19, v[4:5]
	ds_write_b64 v21, v[8:9]
	;; [unrolled: 1-line block ×5, first 2 shown]
	v_and_b32_e32 v12, 1, v0
	v_lshlrev_b32_e32 v4, 3, v12
	s_waitcnt lgkmcnt(0)
	; wave barrier
	s_waitcnt lgkmcnt(0)
	global_load_dwordx2 v[48:49], v4, s[8:9]
	ds_read2_b32 v[46:47], v71 offset1:52
	ds_read2_b32 v[62:63], v1 offset0:112 offset1:164
	ds_read2_b32 v[44:45], v71 offset0:104 offset1:156
	;; [unrolled: 1-line block ×6, first 2 shown]
	s_movk_i32 s2, 0x7c
	v_lshlrev_b32_e32 v5, 1, v0
	v_and_or_b32 v8, v5, s2, v12
	v_lshl_add_u32 v83, v8, 2, 0
	ds_read2_b32 v[66:67], v80 offset0:64 offset1:116
	ds_read2_b32 v[58:59], v82 offset0:56 offset1:108
	;; [unrolled: 1-line block ×5, first 2 shown]
	s_waitcnt lgkmcnt(0)
	; wave barrier
	s_waitcnt lgkmcnt(0)
	s_movk_i32 s2, 0xfc
	s_movk_i32 s3, 0x2fc
	v_lshlrev_b32_e32 v15, 1, v73
	v_and_or_b32 v15, v15, s3, v12
	v_lshlrev_b32_e32 v28, 1, v70
	v_lshlrev_b32_e32 v29, 1, v69
	;; [unrolled: 1-line block ×3, first 2 shown]
	v_add_u32_e32 v97, 0xe00, v71
	v_cmp_gt_u32_e32 vcc, 44, v0
	s_waitcnt vmcnt(0)
	v_mul_f32_e32 v4, v62, v49
	v_fma_f32 v4, v34, v48, -v4
	v_sub_f32_e32 v4, v84, v4
	v_fma_f32 v8, v84, 2.0, -v4
	ds_write2_b32 v83, v8, v4 offset1:2
	v_mul_f32_e32 v4, v63, v49
	v_fma_f32 v4, v35, v48, -v4
	v_sub_f32_e32 v8, v85, v4
	v_lshlrev_b32_e32 v4, 1, v79
	v_and_or_b32 v13, v4, s2, v12
	v_fma_f32 v9, v85, 2.0, -v8
	v_lshl_add_u32 v84, v13, 2, 0
	ds_write2_b32 v84, v9, v8 offset1:2
	v_mul_f32_e32 v8, v60, v49
	v_fma_f32 v8, v30, v48, -v8
	s_movk_i32 s2, 0x1fc
	v_lshlrev_b32_e32 v9, 1, v78
	v_sub_f32_e32 v8, v86, v8
	v_and_or_b32 v9, v9, s2, v12
	v_lshl_add_u32 v85, v9, 2, 0
	v_fma_f32 v9, v86, 2.0, -v8
	ds_write2_b32 v85, v9, v8 offset1:2
	v_mul_f32_e32 v8, v61, v49
	v_fma_f32 v8, v31, v48, -v8
	v_lshlrev_b32_e32 v13, 1, v77
	v_sub_f32_e32 v8, v87, v8
	v_and_or_b32 v13, v13, s2, v12
	v_fma_f32 v9, v87, 2.0, -v8
	v_lshl_add_u32 v86, v13, 2, 0
	ds_write2_b32 v86, v9, v8 offset1:2
	v_mul_f32_e32 v8, v66, v49
	v_fma_f32 v8, v26, v48, -v8
	s_movk_i32 s2, 0x3fc
	v_lshlrev_b32_e32 v9, 1, v75
	v_sub_f32_e32 v8, v88, v8
	v_and_or_b32 v9, v9, s2, v12
	v_lshl_add_u32 v87, v9, 2, 0
	v_fma_f32 v9, v88, 2.0, -v8
	ds_write2_b32 v87, v9, v8 offset1:2
	v_mul_f32_e32 v8, v67, v49
	v_fma_f32 v8, v27, v48, -v8
	v_lshlrev_b32_e32 v13, 1, v74
	v_sub_f32_e32 v8, v89, v8
	v_and_or_b32 v13, v13, s3, v12
	v_fma_f32 v9, v89, 2.0, -v8
	v_lshl_add_u32 v88, v13, 2, 0
	ds_write2_b32 v88, v9, v8 offset1:2
	v_mul_f32_e32 v8, v53, v49
	v_fma_f32 v8, v11, v48, -v8
	v_sub_f32_e32 v18, v93, v8
	v_mul_f32_e32 v8, v65, v49
	v_fma_f32 v8, v25, v48, -v8
	v_sub_f32_e32 v22, v91, v8
	v_mul_f32_e32 v8, v64, v49
	v_mul_f32_e32 v13, v51, v49
	v_fma_f32 v8, v24, v48, -v8
	v_fma_f32 v13, v7, v48, -v13
	v_sub_f32_e32 v8, v90, v8
	v_mul_f32_e32 v9, v50, v49
	v_sub_f32_e32 v14, v95, v13
	v_fma_f32 v13, v90, 2.0, -v8
	v_lshl_add_u32 v89, v15, 2, 0
	v_fma_f32 v9, v6, v48, -v9
	ds_write2_b32 v89, v13, v8 offset1:2
	v_lshlrev_b32_e32 v13, 1, v72
	v_lshlrev_b32_e32 v15, 1, v76
	v_sub_f32_e32 v16, v94, v9
	v_mul_f32_e32 v9, v52, v49
	v_and_or_b32 v13, v13, s2, v12
	v_and_or_b32 v15, v15, s2, v12
	s_movk_i32 s2, 0x7fc
	v_fma_f32 v9, v10, v48, -v9
	v_and_or_b32 v28, v28, s2, v12
	s_movk_i32 s2, 0x4fc
	v_sub_f32_e32 v20, v92, v9
	v_and_or_b32 v29, v29, s2, v12
	v_and_or_b32 v12, v32, s2, v12
	v_fma_f32 v17, v95, 2.0, -v14
	v_fma_f32 v19, v94, 2.0, -v16
	;; [unrolled: 1-line block ×5, first 2 shown]
	v_lshl_add_u32 v92, v13, 2, 0
	v_lshl_add_u32 v93, v15, 2, 0
	;; [unrolled: 1-line block ×5, first 2 shown]
	ds_write2_b32 v92, v9, v22 offset1:2
	ds_write2_b32 v93, v23, v20 offset1:2
	;; [unrolled: 1-line block ×5, first 2 shown]
	s_waitcnt lgkmcnt(0)
	; wave barrier
	s_waitcnt lgkmcnt(0)
	ds_read_b32 v91, v71 offset:4608
	ds_read2_b32 v[12:13], v71 offset1:96
	ds_read2_b32 v[40:41], v81 offset0:64 offset1:160
	ds_read2_b32 v[38:39], v82 offset0:128 offset1:224
	;; [unrolled: 1-line block ×3, first 2 shown]
	ds_read2_b32 v[32:33], v80 offset1:96
	ds_read2_b32 v[28:29], v97 offset0:64 offset1:160
                                        ; implicit-def: $vgpr90
	s_and_saveexec_b64 s[2:3], vcc
	s_cbranch_execz .LBB0_13
; %bb.12:
	v_add_u32_e32 v14, 0x600, v71
	ds_read2_b32 v[8:9], v71 offset0:52 offset1:148
	ds_read2_b32 v[22:23], v81 offset0:116 offset1:212
	;; [unrolled: 1-line block ×6, first 2 shown]
	ds_read_b32 v90, v71 offset:4816
.LBB0_13:
	s_or_b64 exec, exec, s[2:3]
	v_mul_f32_e32 v34, v34, v49
	v_mul_f32_e32 v35, v35, v49
	;; [unrolled: 1-line block ×7, first 2 shown]
	v_fmac_f32_e32 v34, v62, v48
	v_fmac_f32_e32 v35, v63, v48
	;; [unrolled: 1-line block ×6, first 2 shown]
	v_mul_f32_e32 v24, v24, v49
	v_mul_f32_e32 v25, v25, v49
	v_fmac_f32_e32 v10, v52, v48
	v_mul_f32_e32 v11, v11, v49
	v_mul_f32_e32 v52, v6, v49
	;; [unrolled: 1-line block ×3, first 2 shown]
	v_fmac_f32_e32 v24, v64, v48
	v_fmac_f32_e32 v25, v65, v48
	v_fmac_f32_e32 v11, v53, v48
	v_fmac_f32_e32 v52, v50, v48
	v_fmac_f32_e32 v49, v51, v48
	v_sub_f32_e32 v48, v46, v34
	v_sub_f32_e32 v50, v47, v35
	;; [unrolled: 1-line block ×6, first 2 shown]
	v_fma_f32 v46, v46, 2.0, -v48
	v_fma_f32 v47, v47, 2.0, -v50
	;; [unrolled: 1-line block ×6, first 2 shown]
	v_sub_f32_e32 v6, v58, v24
	v_sub_f32_e32 v30, v59, v25
	;; [unrolled: 1-line block ×6, first 2 shown]
	v_fma_f32 v58, v58, 2.0, -v6
	v_fma_f32 v7, v59, 2.0, -v30
	v_fma_f32 v31, v56, 2.0, -v34
	v_fma_f32 v35, v57, 2.0, -v42
	v_fma_f32 v43, v54, 2.0, -v26
	v_fma_f32 v27, v55, 2.0, -v24
	s_waitcnt lgkmcnt(0)
	; wave barrier
	s_waitcnt lgkmcnt(0)
	ds_write2_b32 v83, v46, v48 offset1:2
	ds_write2_b32 v84, v47, v50 offset1:2
	;; [unrolled: 1-line block ×12, first 2 shown]
	s_waitcnt lgkmcnt(0)
	; wave barrier
	s_waitcnt lgkmcnt(0)
	ds_read2_b32 v[10:11], v71 offset1:96
	ds_read2_b32 v[52:53], v81 offset0:64 offset1:160
	ds_read2_b32 v[50:51], v82 offset0:128 offset1:224
	;; [unrolled: 1-line block ×3, first 2 shown]
	ds_read2_b32 v[46:47], v80 offset1:96
	ds_read2_b32 v[44:45], v97 offset0:64 offset1:160
	ds_read_b32 v63, v71 offset:4608
                                        ; implicit-def: $vgpr67
	s_and_saveexec_b64 s[2:3], vcc
	s_cbranch_execz .LBB0_15
; %bb.14:
	v_add_u32_e32 v1, 0x200, v71
	ds_read2_b32 v[30:31], v1 offset0:116 offset1:212
	v_add_u32_e32 v1, 0x600, v71
	ds_read2_b32 v[34:35], v1 offset0:52 offset1:148
	v_add_u32_e32 v1, 0x800, v71
	ds_read2_b32 v[42:43], v1 offset0:116 offset1:212
	v_add_u32_e32 v1, 0xc00, v71
	ds_read2_b32 v[26:27], v1 offset0:52 offset1:148
	v_add_u32_e32 v1, 0xe00, v71
	ds_read2_b32 v[6:7], v71 offset0:52 offset1:148
	ds_read2_b32 v[24:25], v1 offset0:116 offset1:212
	ds_read_b32 v67, v71 offset:4816
.LBB0_15:
	s_or_b64 exec, exec, s[2:3]
	v_and_b32_e32 v1, 3, v0
	v_mul_u32_u24_e32 v54, 12, v1
	v_lshlrev_b32_e32 v54, 3, v54
	global_load_dwordx4 v[92:95], v54, s[8:9] offset:16
	global_load_dwordx4 v[96:99], v54, s[8:9] offset:32
	;; [unrolled: 1-line block ×6, first 2 shown]
	s_mov_b32 s6, 0x3f62ad3f
	s_mov_b32 s5, 0x3f116cb1
	;; [unrolled: 1-line block ×6, first 2 shown]
	s_waitcnt lgkmcnt(0)
	; wave barrier
	s_waitcnt vmcnt(5) lgkmcnt(0)
	v_mul_f32_e32 v64, v11, v93
	v_mul_f32_e32 v86, v13, v93
	;; [unrolled: 1-line block ×4, first 2 shown]
	s_waitcnt vmcnt(4)
	v_mul_f32_e32 v116, v53, v97
	v_mul_f32_e32 v82, v41, v97
	v_mul_f32_e32 v117, v50, v99
	v_mul_f32_e32 v80, v38, v99
	s_waitcnt vmcnt(3)
	v_mul_f32_e32 v118, v51, v101
	v_mul_f32_e32 v65, v39, v101
	;; [unrolled: 1-line block ×14, first 2 shown]
	s_waitcnt vmcnt(2)
	v_mul_f32_e32 v55, v19, v105
	v_fmac_f32_e32 v60, v7, v92
	v_fma_f32 v7, v18, v102, -v101
	v_mul_f32_e32 v18, v26, v107
	v_mul_f32_e32 v119, v48, v103
	;; [unrolled: 1-line block ×3, first 2 shown]
	s_waitcnt vmcnt(0)
	v_mul_f32_e32 v85, v29, v113
	v_mul_f32_e32 v88, v91, v115
	;; [unrolled: 1-line block ×3, first 2 shown]
	v_fmac_f32_e32 v56, v35, v100
	v_fmac_f32_e32 v55, v43, v104
	v_fma_f32 v35, v16, v106, -v18
	v_mul_f32_e32 v43, v16, v107
	v_mul_f32_e32 v16, v27, v109
	;; [unrolled: 1-line block ×6, first 2 shown]
	v_fmac_f32_e32 v86, v11, v92
	v_fmac_f32_e32 v85, v45, v112
	;; [unrolled: 1-line block ×3, first 2 shown]
	v_fma_f32 v45, v17, v108, -v16
	v_mul_f32_e32 v16, v24, v111
	v_mul_f32_e32 v66, v32, v107
	;; [unrolled: 1-line block ×3, first 2 shown]
	v_fma_f32 v89, v13, v92, -v64
	v_fmac_f32_e32 v84, v52, v94
	v_fmac_f32_e32 v61, v48, v102
	v_fma_f32 v13, v37, v104, -v120
	v_fmac_f32_e32 v62, v49, v104
	v_fma_f32 v37, v91, v114, -v125
	v_fma_f32 v48, v14, v110, -v16
	v_mul_f32_e32 v49, v14, v111
	v_mul_f32_e32 v14, v25, v113
	;; [unrolled: 1-line block ×3, first 2 shown]
	v_sub_f32_e32 v16, v86, v88
	v_mul_f32_e32 v121, v46, v107
	v_mul_f32_e32 v122, v47, v109
	;; [unrolled: 1-line block ×3, first 2 shown]
	v_fmac_f32_e32 v82, v53, v96
	v_fmac_f32_e32 v65, v51, v100
	v_fma_f32 v11, v36, v102, -v119
	v_fmac_f32_e32 v66, v46, v106
	v_fmac_f32_e32 v81, v47, v108
	v_fma_f32 v53, v9, v92, -v126
	v_fma_f32 v47, v23, v96, -v95
	;; [unrolled: 1-line block ×4, first 2 shown]
	v_mul_f32_e32 v46, v17, v109
	v_fma_f32 v51, v15, v112, -v14
	v_fmac_f32_e32 v52, v25, v112
	v_add_f32_e32 v15, v89, v37
	v_mul_f32_e32 v17, 0xbeedf032, v16
	v_mul_f32_e32 v19, 0xbf52af12, v16
	;; [unrolled: 1-line block ×7, first 2 shown]
	v_fmac_f32_e32 v80, v50, v98
	v_fmac_f32_e32 v83, v44, v110
	v_fma_f32 v50, v22, v94, -v93
	v_fma_f32 v44, v20, v98, -v97
	v_fmac_f32_e32 v43, v26, v106
	v_fmac_f32_e32 v46, v27, v108
	;; [unrolled: 1-line block ×3, first 2 shown]
	v_mul_f32_e32 v14, v67, v115
	v_fma_f32 v18, v15, s6, -v17
	v_fmac_f32_e32 v17, 0x3f62ad3f, v15
	v_fma_f32 v20, v15, s5, -v19
	v_fmac_f32_e32 v19, 0x3f116cb1, v15
	;; [unrolled: 2-line block ×6, first 2 shown]
	v_fma_f32 v87, v40, v94, -v87
	v_fma_f32 v29, v29, v112, -v124
	;; [unrolled: 1-line block ×3, first 2 shown]
	v_add_f32_e32 v14, v12, v89
	v_add_f32_e32 v18, v12, v18
	;; [unrolled: 1-line block ×13, first 2 shown]
	v_sub_f32_e32 v16, v84, v85
	v_fmac_f32_e32 v59, v30, v94
	v_add_f32_e32 v15, v87, v29
	v_mul_f32_e32 v30, 0xbf52af12, v16
	v_fmac_f32_e32 v58, v31, v96
	v_fma_f32 v31, v15, s5, -v30
	v_fmac_f32_e32 v30, 0x3f116cb1, v15
	v_add_f32_e32 v17, v30, v17
	v_mul_f32_e32 v30, 0xbf6f5d39, v16
	v_add_f32_e32 v18, v31, v18
	v_fma_f32 v31, v15, s7, -v30
	v_fmac_f32_e32 v30, 0xbeb58ec6, v15
	v_add_f32_e32 v19, v30, v19
	v_mul_f32_e32 v30, 0xbe750f2a, v16
	v_add_f32_e32 v20, v31, v20
	v_fma_f32 v31, v15, s11, -v30
	v_fmac_f32_e32 v30, 0xbf788fa5, v15
	v_add_f32_e32 v21, v30, v21
	v_mul_f32_e32 v30, 0x3f29c268, v16
	v_add_f32_e32 v22, v31, v22
	v_fma_f32 v31, v15, s10, -v30
	v_fmac_f32_e32 v30, 0xbf3f9e67, v15
	v_add_f32_e32 v23, v30, v23
	v_mul_f32_e32 v30, 0x3f7e222b, v16
	v_add_f32_e32 v24, v31, v24
	v_fma_f32 v31, v15, s4, -v30
	v_fmac_f32_e32 v30, 0x3df6dbef, v15
	v_mul_f32_e32 v16, 0x3eedf032, v16
	v_add_f32_e32 v25, v30, v25
	v_fma_f32 v30, v15, s6, -v16
	v_fmac_f32_e32 v16, 0x3f62ad3f, v15
	v_fma_f32 v41, v41, v96, -v116
	v_fma_f32 v28, v28, v110, -v123
	v_add_f32_e32 v12, v16, v12
	v_sub_f32_e32 v16, v82, v83
	v_add_f32_e32 v27, v30, v27
	v_add_f32_e32 v15, v41, v28
	v_mul_f32_e32 v30, 0xbf7e222b, v16
	v_add_f32_e32 v26, v31, v26
	v_fma_f32 v31, v15, s4, -v30
	v_fmac_f32_e32 v30, 0x3df6dbef, v15
	v_add_f32_e32 v17, v30, v17
	v_mul_f32_e32 v30, 0xbe750f2a, v16
	v_add_f32_e32 v18, v31, v18
	v_fma_f32 v31, v15, s11, -v30
	v_fmac_f32_e32 v30, 0xbf788fa5, v15
	v_add_f32_e32 v19, v30, v19
	v_mul_f32_e32 v30, 0x3f6f5d39, v16
	v_add_f32_e32 v20, v31, v20
	v_fma_f32 v31, v15, s7, -v30
	v_fmac_f32_e32 v30, 0xbeb58ec6, v15
	v_add_f32_e32 v21, v30, v21
	v_mul_f32_e32 v30, 0x3eedf032, v16
	v_add_f32_e32 v22, v31, v22
	v_fma_f32 v31, v15, s6, -v30
	v_fmac_f32_e32 v30, 0x3f62ad3f, v15
	v_add_f32_e32 v23, v30, v23
	v_mul_f32_e32 v30, 0xbf52af12, v16
	v_add_f32_e32 v24, v31, v24
	v_fma_f32 v31, v15, s5, -v30
	v_fmac_f32_e32 v30, 0x3f116cb1, v15
	v_mul_f32_e32 v16, 0xbf29c268, v16
	v_add_f32_e32 v25, v30, v25
	v_fma_f32 v30, v15, s10, -v16
	v_fmac_f32_e32 v16, 0xbf3f9e67, v15
	v_fma_f32 v40, v38, v98, -v117
	v_fma_f32 v33, v33, v108, -v122
	v_add_f32_e32 v12, v16, v12
	v_sub_f32_e32 v16, v80, v81
	v_add_f32_e32 v27, v30, v27
	v_add_f32_e32 v15, v40, v33
	v_mul_f32_e32 v30, 0xbf6f5d39, v16
	v_add_f32_e32 v26, v31, v26
	;; [unrolled: 34-line block ×3, first 2 shown]
	v_fma_f32 v31, v15, s10, -v30
	v_fmac_f32_e32 v30, 0xbf3f9e67, v15
	v_add_f32_e32 v17, v30, v17
	v_mul_f32_e32 v30, 0x3f7e222b, v16
	v_add_f32_e32 v18, v31, v18
	v_fma_f32 v31, v15, s4, -v30
	v_fmac_f32_e32 v30, 0x3df6dbef, v15
	v_add_f32_e32 v19, v30, v19
	v_mul_f32_e32 v30, 0xbf52af12, v16
	v_add_f32_e32 v20, v31, v20
	;; [unrolled: 5-line block ×4, first 2 shown]
	v_fma_f32 v31, v15, s6, -v30
	v_fmac_f32_e32 v30, 0x3f62ad3f, v15
	v_mul_f32_e32 v16, 0xbf6f5d39, v16
	v_add_f32_e32 v25, v30, v25
	v_fma_f32 v30, v15, s7, -v16
	v_fmac_f32_e32 v16, 0xbeb58ec6, v15
	v_add_f32_e32 v12, v16, v12
	v_sub_f32_e32 v16, v61, v62
	v_add_f32_e32 v27, v30, v27
	v_add_f32_e32 v15, v11, v13
	v_mul_f32_e32 v30, 0xbe750f2a, v16
	v_add_f32_e32 v26, v31, v26
	v_fma_f32 v31, v15, s11, -v30
	v_fmac_f32_e32 v30, 0xbf788fa5, v15
	v_add_f32_e32 v17, v30, v17
	v_mul_f32_e32 v30, 0x3eedf032, v16
	v_add_f32_e32 v14, v14, v87
	v_add_f32_e32 v18, v31, v18
	v_fma_f32 v31, v15, s6, -v30
	v_fmac_f32_e32 v30, 0x3f62ad3f, v15
	v_add_f32_e32 v14, v14, v41
	v_add_f32_e32 v19, v30, v19
	v_mul_f32_e32 v30, 0xbf29c268, v16
	v_add_f32_e32 v14, v14, v40
	v_add_f32_e32 v20, v31, v20
	v_fma_f32 v31, v15, s10, -v30
	v_fmac_f32_e32 v30, 0xbf3f9e67, v15
	v_add_f32_e32 v14, v14, v38
	v_add_f32_e32 v21, v30, v21
	v_mul_f32_e32 v30, 0x3f52af12, v16
	v_add_f32_e32 v14, v14, v11
	v_add_f32_e32 v22, v31, v22
	v_fma_f32 v31, v15, s5, -v30
	v_fmac_f32_e32 v30, 0x3f116cb1, v15
	v_add_f32_e32 v14, v14, v13
	v_add_f32_e32 v23, v30, v23
	v_mul_f32_e32 v30, 0xbf6f5d39, v16
	v_add_f32_e32 v14, v14, v32
	v_add_f32_e32 v24, v31, v24
	v_fma_f32 v31, v15, s7, -v30
	v_fmac_f32_e32 v30, 0xbeb58ec6, v15
	v_mul_f32_e32 v16, 0x3f7e222b, v16
	v_add_f32_e32 v14, v14, v33
	v_add_f32_e32 v25, v30, v25
	v_fma_f32 v30, v15, s4, -v16
	v_fmac_f32_e32 v16, 0x3df6dbef, v15
	v_lshrrev_b32_e32 v15, 2, v0
	v_add_f32_e32 v14, v14, v28
	v_mul_u32_u24_e32 v15, 52, v15
	v_mul_f32_e32 v64, v90, v115
	v_add_f32_e32 v14, v14, v29
	v_or_b32_e32 v15, v15, v1
	v_fmac_f32_e32 v57, v34, v98
	v_fmac_f32_e32 v54, v42, v102
	;; [unrolled: 1-line block ×3, first 2 shown]
	v_add_f32_e32 v14, v14, v37
	v_lshl_add_u32 v90, v15, 2, 0
	v_lshrrev_b32_e32 v67, 2, v79
	v_add_f32_e32 v26, v31, v26
	v_add_f32_e32 v27, v30, v27
	;; [unrolled: 1-line block ×3, first 2 shown]
	ds_write2_b32 v90, v14, v18 offset1:4
	ds_write2_b32 v90, v20, v22 offset0:8 offset1:12
	ds_write2_b32 v90, v24, v26 offset0:16 offset1:20
	;; [unrolled: 1-line block ×5, first 2 shown]
	ds_write_b32 v90, v17 offset:192
	s_and_saveexec_b64 s[2:3], vcc
	s_cbranch_execz .LBB0_17
; %bb.16:
	v_sub_f32_e32 v14, v60, v64
	v_mul_f32_e32 v15, 0xbe750f2a, v14
	v_sub_f32_e32 v18, v59, v52
	v_add_f32_e32 v12, v53, v63
	v_mov_b32_e32 v16, v15
	v_mul_f32_e32 v19, 0x3eedf032, v18
	v_fmac_f32_e32 v16, 0xbf788fa5, v12
	v_add_f32_e32 v17, v50, v51
	v_mov_b32_e32 v20, v19
	v_sub_f32_e32 v21, v58, v49
	v_add_f32_e32 v16, v8, v16
	v_fmac_f32_e32 v20, 0x3f62ad3f, v17
	v_mul_f32_e32 v22, 0xbf29c268, v21
	v_add_f32_e32 v16, v20, v16
	v_add_f32_e32 v20, v47, v48
	v_mov_b32_e32 v23, v22
	v_sub_f32_e32 v24, v57, v46
	v_fmac_f32_e32 v23, 0xbf3f9e67, v20
	v_mul_f32_e32 v25, 0x3f52af12, v24
	v_add_f32_e32 v16, v23, v16
	v_add_f32_e32 v23, v44, v45
	v_mov_b32_e32 v26, v25
	v_sub_f32_e32 v27, v56, v43
	v_fma_f32 v15, v12, s11, -v15
	v_fmac_f32_e32 v26, 0x3f116cb1, v23
	v_mul_f32_e32 v30, 0xbf6f5d39, v27
	v_add_f32_e32 v15, v8, v15
	v_fma_f32 v19, v17, s6, -v19
	v_add_f32_e32 v16, v26, v16
	v_add_f32_e32 v26, v36, v35
	v_mov_b32_e32 v31, v30
	v_add_f32_e32 v15, v19, v15
	v_fma_f32 v19, v20, s10, -v22
	v_fmac_f32_e32 v31, 0xbeb58ec6, v26
	v_sub_f32_e32 v34, v54, v55
	v_add_f32_e32 v15, v19, v15
	v_fma_f32 v19, v23, s5, -v25
	v_add_f32_e32 v16, v31, v16
	v_add_f32_e32 v31, v7, v9
	v_mul_f32_e32 v39, 0x3f7e222b, v34
	v_add_f32_e32 v15, v19, v15
	v_fma_f32 v19, v26, s7, -v30
	v_add_f32_e32 v15, v19, v15
	v_fma_f32 v19, v31, s4, -v39
	v_add_f32_e32 v15, v19, v15
	v_mul_f32_e32 v19, 0xbf29c268, v14
	v_mov_b32_e32 v22, v19
	v_mul_f32_e32 v25, 0x3f7e222b, v18
	v_fmac_f32_e32 v22, 0xbf3f9e67, v12
	v_mov_b32_e32 v30, v25
	v_add_f32_e32 v22, v8, v22
	v_fmac_f32_e32 v30, 0x3df6dbef, v17
	v_add_f32_e32 v22, v30, v22
	v_mul_f32_e32 v30, 0xbf52af12, v21
	v_mov_b32_e32 v42, v39
	v_mov_b32_e32 v39, v30
	v_fmac_f32_e32 v39, 0x3f116cb1, v20
	v_fmac_f32_e32 v42, 0x3df6dbef, v31
	v_add_f32_e32 v22, v39, v22
	v_mul_f32_e32 v39, 0x3e750f2a, v24
	v_add_f32_e32 v16, v42, v16
	v_mov_b32_e32 v42, v39
	v_fmac_f32_e32 v42, 0xbf788fa5, v23
	v_fma_f32 v19, v12, s10, -v19
	v_add_f32_e32 v22, v42, v22
	v_mul_f32_e32 v42, 0x3eedf032, v27
	v_add_f32_e32 v19, v8, v19
	v_fma_f32 v25, v17, s4, -v25
	v_mov_b32_e32 v79, v42
	v_add_f32_e32 v19, v25, v19
	v_fma_f32 v25, v20, s5, -v30
	v_fmac_f32_e32 v79, 0x3f62ad3f, v26
	v_add_f32_e32 v19, v25, v19
	v_fma_f32 v25, v23, s11, -v39
	v_add_f32_e32 v22, v79, v22
	v_mul_f32_e32 v79, 0xbf6f5d39, v34
	v_add_f32_e32 v19, v25, v19
	v_fma_f32 v25, v26, s6, -v42
	v_add_f32_e32 v19, v25, v19
	v_fma_f32 v25, v31, s7, -v79
	v_add_f32_e32 v19, v25, v19
	v_mul_f32_e32 v25, 0xbf6f5d39, v14
	v_mov_b32_e32 v30, v25
	v_mul_f32_e32 v39, 0x3f29c268, v18
	v_fmac_f32_e32 v30, 0xbeb58ec6, v12
	v_mov_b32_e32 v42, v39
	v_add_f32_e32 v30, v8, v30
	v_fmac_f32_e32 v42, 0xbf3f9e67, v17
	v_add_f32_e32 v30, v42, v30
	v_mul_f32_e32 v42, 0x3eedf032, v21
	v_mov_b32_e32 v91, v79
	v_mov_b32_e32 v79, v42
	v_fmac_f32_e32 v79, 0x3f62ad3f, v20
	v_fmac_f32_e32 v91, 0xbeb58ec6, v31
	v_add_f32_e32 v30, v79, v30
	v_mul_f32_e32 v79, 0xbf7e222b, v24
	v_add_f32_e32 v22, v91, v22
	v_mov_b32_e32 v91, v79
	v_fmac_f32_e32 v91, 0x3df6dbef, v23
	v_fma_f32 v25, v12, s7, -v25
	v_add_f32_e32 v30, v91, v30
	v_mul_f32_e32 v91, 0x3e750f2a, v27
	v_add_f32_e32 v25, v8, v25
	v_fma_f32 v39, v17, s10, -v39
	v_mov_b32_e32 v92, v91
	v_add_f32_e32 v25, v39, v25
	v_fma_f32 v39, v20, s6, -v42
	v_fmac_f32_e32 v92, 0xbf788fa5, v26
	v_add_f32_e32 v25, v39, v25
	v_fma_f32 v39, v23, s4, -v79
	;; [unrolled: 36-line block ×4, first 2 shown]
	v_add_f32_e32 v91, v96, v91
	v_mul_f32_e32 v96, 0x3eedf032, v34
	v_add_f32_e32 v79, v92, v79
	v_fma_f32 v92, v26, s4, -v95
	v_add_f32_e32 v79, v92, v79
	v_fma_f32 v92, v31, s6, -v96
	v_mul_f32_e32 v14, 0xbeedf032, v14
	v_add_f32_e32 v79, v92, v79
	v_mov_b32_e32 v92, v14
	v_fmac_f32_e32 v92, 0x3f62ad3f, v12
	v_fma_f32 v12, v12, s6, -v14
	v_add_f32_e32 v92, v8, v92
	v_add_f32_e32 v12, v8, v12
	;; [unrolled: 1-line block ×3, first 2 shown]
	v_mul_f32_e32 v18, 0xbf52af12, v18
	v_add_f32_e32 v8, v8, v50
	v_mov_b32_e32 v93, v18
	v_add_f32_e32 v8, v8, v47
	v_fmac_f32_e32 v93, 0x3f116cb1, v17
	v_mul_f32_e32 v21, 0xbf7e222b, v21
	v_add_f32_e32 v8, v8, v44
	v_add_f32_e32 v92, v93, v92
	v_mov_b32_e32 v93, v21
	v_fma_f32 v14, v17, s5, -v18
	v_add_f32_e32 v8, v8, v36
	v_fmac_f32_e32 v93, 0x3df6dbef, v20
	v_mul_f32_e32 v24, 0xbf6f5d39, v24
	v_add_f32_e32 v12, v14, v12
	v_fma_f32 v14, v20, s4, -v21
	v_add_f32_e32 v8, v8, v7
	v_add_f32_e32 v92, v93, v92
	v_mov_b32_e32 v93, v24
	v_mul_f32_e32 v27, 0xbf29c268, v27
	v_add_f32_e32 v12, v14, v12
	v_fma_f32 v14, v23, s7, -v24
	v_add_f32_e32 v8, v8, v9
	v_fmac_f32_e32 v93, 0xbeb58ec6, v23
	v_mul_f32_e32 v34, 0xbe750f2a, v34
	v_add_f32_e32 v12, v14, v12
	v_fma_f32 v14, v26, s10, -v27
	v_add_f32_e32 v8, v8, v35
	v_add_f32_e32 v92, v93, v92
	v_mov_b32_e32 v93, v27
	v_add_f32_e32 v12, v14, v12
	v_fma_f32 v14, v31, s11, -v34
	v_add_f32_e32 v8, v8, v45
	v_fmac_f32_e32 v93, 0xbf3f9e67, v26
	v_add_f32_e32 v12, v14, v12
	v_add_f32_e32 v8, v8, v48
	v_mul_u32_u24_e32 v14, 52, v67
	v_mov_b32_e32 v97, v96
	v_add_f32_e32 v92, v93, v92
	v_mov_b32_e32 v93, v34
	v_add_f32_e32 v8, v8, v51
	v_or_b32_e32 v14, v14, v1
	v_fmac_f32_e32 v97, 0x3f62ad3f, v31
	v_fmac_f32_e32 v93, 0xbf788fa5, v31
	v_add_f32_e32 v8, v8, v63
	v_lshl_add_u32 v14, v14, 2, 0
	v_add_f32_e32 v91, v97, v91
	v_add_f32_e32 v92, v93, v92
	ds_write2_b32 v14, v8, v12 offset1:4
	ds_write2_b32 v14, v79, v39 offset0:8 offset1:12
	ds_write2_b32 v14, v25, v19 offset0:16 offset1:20
	;; [unrolled: 1-line block ×5, first 2 shown]
	ds_write_b32 v14, v92 offset:192
.LBB0_17:
	s_or_b64 exec, exec, s[2:3]
	v_sub_f32_e32 v14, v89, v37
	v_mul_f32_e32 v15, 0xbeedf032, v14
	v_mul_f32_e32 v17, 0xbf52af12, v14
	v_mul_f32_e32 v19, 0xbf7e222b, v14
	v_mul_f32_e32 v21, 0xbf6f5d39, v14
	v_mul_f32_e32 v23, 0xbf29c268, v14
	v_mul_f32_e32 v14, 0xbe750f2a, v14
	v_add_f32_e32 v12, v86, v88
	v_mov_b32_e32 v16, v15
	v_mov_b32_e32 v18, v17
	;; [unrolled: 1-line block ×6, first 2 shown]
	v_fmac_f32_e32 v16, 0x3f62ad3f, v12
	v_fma_f32 v15, v12, s6, -v15
	v_fmac_f32_e32 v18, 0x3f116cb1, v12
	v_fma_f32 v17, v12, s5, -v17
	;; [unrolled: 2-line block ×6, first 2 shown]
	v_sub_f32_e32 v14, v87, v29
	v_add_f32_e32 v8, v10, v86
	v_add_f32_e32 v16, v10, v16
	;; [unrolled: 1-line block ×14, first 2 shown]
	v_mul_f32_e32 v26, 0xbf52af12, v14
	v_mov_b32_e32 v27, v26
	v_fma_f32 v26, v12, s5, -v26
	v_fmac_f32_e32 v27, 0x3f116cb1, v12
	v_add_f32_e32 v15, v26, v15
	v_mul_f32_e32 v26, 0xbf6f5d39, v14
	v_add_f32_e32 v16, v27, v16
	v_mov_b32_e32 v27, v26
	v_fma_f32 v26, v12, s7, -v26
	v_fmac_f32_e32 v27, 0xbeb58ec6, v12
	v_add_f32_e32 v17, v26, v17
	v_mul_f32_e32 v26, 0xbe750f2a, v14
	v_add_f32_e32 v18, v27, v18
	v_mov_b32_e32 v27, v26
	v_fma_f32 v26, v12, s11, -v26
	v_fmac_f32_e32 v27, 0xbf788fa5, v12
	v_add_f32_e32 v19, v26, v19
	v_mul_f32_e32 v26, 0x3f29c268, v14
	v_add_f32_e32 v20, v27, v20
	v_mov_b32_e32 v27, v26
	v_fma_f32 v26, v12, s10, -v26
	v_fmac_f32_e32 v27, 0xbf3f9e67, v12
	v_add_f32_e32 v21, v26, v21
	v_mul_f32_e32 v26, 0x3f7e222b, v14
	v_add_f32_e32 v22, v27, v22
	v_mov_b32_e32 v27, v26
	v_fma_f32 v26, v12, s4, -v26
	v_mul_f32_e32 v14, 0x3eedf032, v14
	v_add_f32_e32 v23, v26, v23
	v_mov_b32_e32 v26, v14
	v_fmac_f32_e32 v27, 0x3df6dbef, v12
	v_fmac_f32_e32 v26, 0x3f62ad3f, v12
	v_fma_f32 v12, v12, s6, -v14
	v_sub_f32_e32 v14, v41, v28
	v_add_f32_e32 v25, v26, v25
	v_add_f32_e32 v10, v12, v10
	v_add_f32_e32 v12, v82, v83
	v_mul_f32_e32 v26, 0xbf7e222b, v14
	v_add_f32_e32 v24, v27, v24
	v_mov_b32_e32 v27, v26
	v_fma_f32 v26, v12, s4, -v26
	v_fmac_f32_e32 v27, 0x3df6dbef, v12
	v_add_f32_e32 v15, v26, v15
	v_mul_f32_e32 v26, 0xbe750f2a, v14
	v_add_f32_e32 v16, v27, v16
	v_mov_b32_e32 v27, v26
	v_fma_f32 v26, v12, s11, -v26
	v_fmac_f32_e32 v27, 0xbf788fa5, v12
	v_add_f32_e32 v17, v26, v17
	v_mul_f32_e32 v26, 0x3f6f5d39, v14
	v_add_f32_e32 v18, v27, v18
	v_mov_b32_e32 v27, v26
	v_fma_f32 v26, v12, s7, -v26
	v_fmac_f32_e32 v27, 0xbeb58ec6, v12
	v_add_f32_e32 v19, v26, v19
	v_mul_f32_e32 v26, 0x3eedf032, v14
	v_add_f32_e32 v20, v27, v20
	v_mov_b32_e32 v27, v26
	v_fma_f32 v26, v12, s6, -v26
	v_fmac_f32_e32 v27, 0x3f62ad3f, v12
	v_add_f32_e32 v21, v26, v21
	v_mul_f32_e32 v26, 0xbf52af12, v14
	v_add_f32_e32 v22, v27, v22
	v_mov_b32_e32 v27, v26
	v_fma_f32 v26, v12, s5, -v26
	v_mul_f32_e32 v14, 0xbf29c268, v14
	v_add_f32_e32 v23, v26, v23
	v_mov_b32_e32 v26, v14
	v_fmac_f32_e32 v27, 0x3f116cb1, v12
	v_fmac_f32_e32 v26, 0xbf3f9e67, v12
	v_fma_f32 v12, v12, s10, -v14
	v_sub_f32_e32 v14, v40, v33
	v_add_f32_e32 v25, v26, v25
	v_add_f32_e32 v10, v12, v10
	v_add_f32_e32 v12, v80, v81
	v_mul_f32_e32 v26, 0xbf6f5d39, v14
	v_add_f32_e32 v24, v27, v24
	;; [unrolled: 38-line block ×3, first 2 shown]
	v_mov_b32_e32 v27, v26
	v_fma_f32 v26, v12, s10, -v26
	v_fmac_f32_e32 v27, 0xbf3f9e67, v12
	v_add_f32_e32 v15, v26, v15
	v_mul_f32_e32 v26, 0x3f7e222b, v14
	v_add_f32_e32 v16, v27, v16
	v_mov_b32_e32 v27, v26
	v_fma_f32 v26, v12, s4, -v26
	v_fmac_f32_e32 v27, 0x3df6dbef, v12
	v_add_f32_e32 v17, v26, v17
	v_mul_f32_e32 v26, 0xbf52af12, v14
	v_add_f32_e32 v18, v27, v18
	;; [unrolled: 6-line block ×4, first 2 shown]
	v_add_f32_e32 v22, v27, v22
	v_mov_b32_e32 v27, v26
	v_fma_f32 v26, v12, s6, -v26
	v_mul_f32_e32 v14, 0xbf6f5d39, v14
	v_add_f32_e32 v8, v8, v82
	v_add_f32_e32 v23, v26, v23
	v_mov_b32_e32 v26, v14
	v_add_f32_e32 v8, v8, v80
	v_fmac_f32_e32 v27, 0x3f62ad3f, v12
	v_fmac_f32_e32 v26, 0xbeb58ec6, v12
	v_fma_f32 v12, v12, s7, -v14
	v_sub_f32_e32 v11, v11, v13
	v_add_f32_e32 v8, v8, v65
	v_add_f32_e32 v10, v12, v10
	;; [unrolled: 1-line block ×3, first 2 shown]
	v_mul_f32_e32 v13, 0xbe750f2a, v11
	v_add_f32_e32 v8, v8, v61
	v_mov_b32_e32 v14, v13
	v_fma_f32 v13, v12, s11, -v13
	v_add_f32_e32 v8, v8, v62
	v_fmac_f32_e32 v14, 0xbf788fa5, v12
	v_add_f32_e32 v62, v13, v15
	v_mul_f32_e32 v13, 0x3eedf032, v11
	v_add_f32_e32 v61, v14, v16
	v_mov_b32_e32 v14, v13
	v_fma_f32 v13, v12, s6, -v13
	v_add_f32_e32 v8, v8, v66
	v_fmac_f32_e32 v14, 0x3f62ad3f, v12
	v_add_f32_e32 v66, v13, v17
	v_mul_f32_e32 v13, 0xbf29c268, v11
	v_add_f32_e32 v65, v14, v18
	v_mov_b32_e32 v14, v13
	v_fma_f32 v13, v12, s10, -v13
	v_fmac_f32_e32 v14, 0xbf3f9e67, v12
	v_add_f32_e32 v80, v13, v19
	v_mul_f32_e32 v13, 0x3f52af12, v11
	v_add_f32_e32 v79, v14, v20
	v_mov_b32_e32 v14, v13
	v_fma_f32 v13, v12, s5, -v13
	v_fmac_f32_e32 v14, 0x3f116cb1, v12
	v_add_f32_e32 v82, v13, v21
	v_mul_f32_e32 v13, 0xbf6f5d39, v11
	v_add_f32_e32 v8, v8, v81
	v_add_f32_e32 v81, v14, v22
	v_mov_b32_e32 v14, v13
	v_fma_f32 v13, v12, s7, -v13
	v_mul_f32_e32 v11, 0x3f7e222b, v11
	v_add_f32_e32 v84, v13, v23
	v_mov_b32_e32 v13, v11
	v_add_f32_e32 v8, v8, v83
	v_add_f32_e32 v24, v27, v24
	;; [unrolled: 1-line block ×3, first 2 shown]
	v_fmac_f32_e32 v14, 0xbeb58ec6, v12
	v_fmac_f32_e32 v13, 0x3df6dbef, v12
	v_fma_f32 v11, v12, s4, -v11
	v_add_u32_e32 v37, 0x800, v71
	v_add_u32_e32 v38, 0xa00, v71
	;; [unrolled: 1-line block ×6, first 2 shown]
	v_add_f32_e32 v8, v8, v85
	v_add_f32_e32 v83, v14, v24
	;; [unrolled: 1-line block ×4, first 2 shown]
	s_waitcnt lgkmcnt(0)
	; wave barrier
	s_waitcnt lgkmcnt(0)
	ds_read2_b32 v[21:22], v71 offset1:52
	ds_read2_b32 v[33:34], v37 offset0:112 offset1:164
	ds_read2_b32 v[19:20], v71 offset0:104 offset1:156
	;; [unrolled: 1-line block ×11, first 2 shown]
	v_add_f32_e32 v8, v8, v88
	s_waitcnt lgkmcnt(0)
	; wave barrier
	s_waitcnt lgkmcnt(0)
	ds_write2_b32 v90, v8, v61 offset1:4
	ds_write2_b32 v90, v65, v79 offset0:8 offset1:12
	ds_write2_b32 v90, v81, v83 offset0:16 offset1:20
	ds_write2_b32 v90, v85, v10 offset0:24 offset1:28
	ds_write2_b32 v90, v84, v82 offset0:32 offset1:36
	ds_write2_b32 v90, v80, v66 offset0:40 offset1:44
	ds_write_b32 v90, v62 offset:192
	s_and_saveexec_b64 s[2:3], vcc
	s_cbranch_execz .LBB0_19
; %bb.18:
	v_add_f32_e32 v8, v6, v60
	v_add_f32_e32 v8, v8, v59
	;; [unrolled: 1-line block ×11, first 2 shown]
	v_sub_f32_e32 v53, v53, v63
	v_add_f32_e32 v8, v8, v64
	v_add_f32_e32 v10, v60, v64
	v_mul_f32_e32 v60, 0xbeedf032, v53
	v_mul_f32_e32 v62, 0xbf52af12, v53
	;; [unrolled: 1-line block ×6, first 2 shown]
	v_mov_b32_e32 v82, v53
	v_fma_f32 v61, v10, s6, -v60
	v_fmac_f32_e32 v60, 0x3f62ad3f, v10
	v_fma_f32 v63, v10, s5, -v62
	v_fmac_f32_e32 v62, 0x3f116cb1, v10
	;; [unrolled: 2-line block ×5, first 2 shown]
	v_fmac_f32_e32 v82, 0xbf788fa5, v10
	v_fma_f32 v10, v10, s11, -v53
	v_sub_f32_e32 v50, v50, v51
	v_add_f32_e32 v60, v6, v60
	v_add_f32_e32 v61, v6, v61
	;; [unrolled: 1-line block ×13, first 2 shown]
	v_mul_f32_e32 v51, 0xbf52af12, v50
	v_fma_f32 v52, v10, s5, -v51
	v_fmac_f32_e32 v51, 0x3f116cb1, v10
	v_mul_f32_e32 v53, 0xbf6f5d39, v50
	v_add_f32_e32 v51, v51, v60
	v_fma_f32 v59, v10, s7, -v53
	v_fmac_f32_e32 v53, 0xbeb58ec6, v10
	v_mul_f32_e32 v60, 0xbe750f2a, v50
	v_add_f32_e32 v52, v52, v61
	v_add_f32_e32 v53, v53, v62
	v_fma_f32 v61, v10, s11, -v60
	v_fmac_f32_e32 v60, 0xbf788fa5, v10
	v_mul_f32_e32 v62, 0x3f29c268, v50
	v_add_f32_e32 v59, v59, v63
	v_add_f32_e32 v60, v60, v64
	v_fma_f32 v63, v10, s10, -v62
	v_fmac_f32_e32 v62, 0xbf3f9e67, v10
	v_mul_f32_e32 v64, 0x3f7e222b, v50
	v_mul_f32_e32 v50, 0x3eedf032, v50
	v_add_f32_e32 v62, v62, v66
	v_mov_b32_e32 v66, v50
	v_add_f32_e32 v61, v61, v65
	v_fma_f32 v65, v10, s4, -v64
	v_fmac_f32_e32 v64, 0x3df6dbef, v10
	v_fmac_f32_e32 v66, 0x3f62ad3f, v10
	v_fma_f32 v10, v10, s6, -v50
	v_sub_f32_e32 v47, v47, v48
	v_add_f32_e32 v6, v10, v6
	v_add_f32_e32 v10, v58, v49
	v_mul_f32_e32 v48, 0xbf7e222b, v47
	v_fma_f32 v49, v10, s4, -v48
	v_fmac_f32_e32 v48, 0x3df6dbef, v10
	v_mul_f32_e32 v50, 0xbe750f2a, v47
	v_add_f32_e32 v48, v48, v51
	v_add_f32_e32 v49, v49, v52
	v_fma_f32 v51, v10, s11, -v50
	v_fmac_f32_e32 v50, 0xbf788fa5, v10
	v_mul_f32_e32 v52, 0x3f6f5d39, v47
	v_add_f32_e32 v50, v50, v53
	v_fma_f32 v53, v10, s7, -v52
	v_fmac_f32_e32 v52, 0xbeb58ec6, v10
	v_mul_f32_e32 v58, 0x3eedf032, v47
	v_add_f32_e32 v51, v51, v59
	v_add_f32_e32 v52, v52, v60
	v_fma_f32 v59, v10, s6, -v58
	v_fmac_f32_e32 v58, 0x3f62ad3f, v10
	v_mul_f32_e32 v60, 0xbf52af12, v47
	v_mul_f32_e32 v47, 0xbf29c268, v47
	v_add_f32_e32 v58, v58, v62
	v_mov_b32_e32 v62, v47
	v_add_f32_e32 v53, v53, v61
	v_fma_f32 v61, v10, s5, -v60
	v_fmac_f32_e32 v60, 0x3f116cb1, v10
	v_fmac_f32_e32 v62, 0xbf3f9e67, v10
	v_fma_f32 v10, v10, s10, -v47
	v_sub_f32_e32 v44, v44, v45
	v_add_f32_e32 v6, v10, v6
	v_add_f32_e32 v10, v57, v46
	v_mul_f32_e32 v45, 0xbf6f5d39, v44
	v_fma_f32 v46, v10, s7, -v45
	v_fmac_f32_e32 v45, 0xbeb58ec6, v10
	v_mul_f32_e32 v47, 0x3f29c268, v44
	v_add_f32_e32 v45, v45, v48
	v_add_f32_e32 v46, v46, v49
	v_fma_f32 v48, v10, s10, -v47
	v_fmac_f32_e32 v47, 0xbf3f9e67, v10
	v_mul_f32_e32 v49, 0x3eedf032, v44
	v_add_f32_e32 v47, v47, v50
	v_add_f32_e32 v48, v48, v51
	;; [unrolled: 5-line block ×3, first 2 shown]
	v_fma_f32 v52, v10, s4, -v51
	v_fmac_f32_e32 v51, 0x3df6dbef, v10
	v_mul_f32_e32 v53, 0x3e750f2a, v44
	v_mul_f32_e32 v44, 0x3f52af12, v44
	v_add_f32_e32 v51, v51, v58
	v_mov_b32_e32 v58, v44
	v_fma_f32 v57, v10, s11, -v53
	v_fmac_f32_e32 v53, 0xbf788fa5, v10
	v_fmac_f32_e32 v58, 0x3f116cb1, v10
	v_fma_f32 v10, v10, s5, -v44
	v_sub_f32_e32 v35, v36, v35
	v_add_f32_e32 v6, v10, v6
	v_add_f32_e32 v10, v56, v43
	v_mul_f32_e32 v36, 0xbf29c268, v35
	v_fma_f32 v43, v10, s10, -v36
	v_fmac_f32_e32 v36, 0xbf3f9e67, v10
	v_mul_f32_e32 v44, 0x3f7e222b, v35
	v_add_f32_e32 v63, v63, v79
	v_add_f32_e32 v36, v36, v45
	v_add_f32_e32 v43, v43, v46
	v_fma_f32 v45, v10, s4, -v44
	v_fmac_f32_e32 v44, 0x3df6dbef, v10
	v_mul_f32_e32 v46, 0xbf52af12, v35
	v_add_f32_e32 v59, v59, v63
	v_add_f32_e32 v44, v44, v47
	v_add_f32_e32 v45, v45, v48
	;; [unrolled: 6-line block ×3, first 2 shown]
	v_fma_f32 v49, v10, s11, -v48
	v_mul_f32_e32 v50, 0x3eedf032, v35
	v_mul_f32_e32 v35, 0xbf6f5d39, v35
	v_fmac_f32_e32 v48, 0xbf788fa5, v10
	v_add_f32_e32 v49, v49, v52
	v_mov_b32_e32 v52, v35
	v_add_f32_e32 v48, v48, v51
	v_fma_f32 v51, v10, s6, -v50
	v_fmac_f32_e32 v50, 0x3f62ad3f, v10
	v_fmac_f32_e32 v52, 0xbeb58ec6, v10
	v_fma_f32 v10, v10, s7, -v35
	v_sub_f32_e32 v7, v7, v9
	v_add_f32_e32 v6, v10, v6
	v_add_f32_e32 v10, v54, v55
	v_mul_f32_e32 v9, 0xbe750f2a, v7
	v_fma_f32 v35, v10, s11, -v9
	v_fmac_f32_e32 v9, 0xbf788fa5, v10
	v_add_f32_e32 v9, v9, v36
	v_mul_f32_e32 v36, 0x3eedf032, v7
	v_add_f32_e32 v35, v35, v43
	v_fma_f32 v43, v10, s6, -v36
	v_fmac_f32_e32 v36, 0x3f62ad3f, v10
	v_add_f32_e32 v36, v36, v44
	v_mul_f32_e32 v44, 0xbf29c268, v7
	v_add_f32_e32 v43, v43, v45
	v_fma_f32 v45, v10, s10, -v44
	v_fmac_f32_e32 v44, 0xbf3f9e67, v10
	v_add_f32_e32 v64, v64, v80
	v_add_f32_e32 v44, v44, v46
	v_mul_f32_e32 v46, 0x3f52af12, v7
	v_add_f32_e32 v60, v60, v64
	v_add_f32_e32 v45, v45, v47
	v_fma_f32 v47, v10, s5, -v46
	v_fmac_f32_e32 v46, 0x3f116cb1, v10
	v_add_f32_e32 v53, v53, v60
	v_add_f32_e32 v46, v46, v48
	v_mul_f32_e32 v48, 0xbf6f5d39, v7
	v_add_f32_e32 v50, v50, v53
	v_add_f32_e32 v47, v47, v49
	v_fma_f32 v49, v10, s7, -v48
	v_fmac_f32_e32 v48, 0xbeb58ec6, v10
	v_mul_f32_e32 v7, 0x3f7e222b, v7
	v_add_f32_e32 v65, v65, v81
	v_add_f32_e32 v66, v66, v82
	;; [unrolled: 1-line block ×3, first 2 shown]
	v_mov_b32_e32 v50, v7
	v_fma_f32 v7, v10, s4, -v7
	v_add_f32_e32 v61, v61, v65
	v_add_f32_e32 v62, v62, v66
	;; [unrolled: 1-line block ×3, first 2 shown]
	v_mul_u32_u24_e32 v7, 52, v67
	v_add_f32_e32 v57, v57, v61
	v_add_f32_e32 v58, v58, v62
	v_or_b32_e32 v1, v7, v1
	v_add_f32_e32 v51, v51, v57
	v_add_f32_e32 v52, v52, v58
	v_fmac_f32_e32 v50, 0x3df6dbef, v10
	v_lshl_add_u32 v1, v1, 2, 0
	v_add_f32_e32 v49, v49, v51
	v_add_f32_e32 v50, v50, v52
	ds_write2_b32 v1, v8, v9 offset1:4
	ds_write2_b32 v1, v36, v44 offset0:8 offset1:12
	ds_write2_b32 v1, v46, v48 offset0:16 offset1:20
	;; [unrolled: 1-line block ×5, first 2 shown]
	ds_write_b32 v1, v35 offset:192
.LBB0_19:
	s_or_b64 exec, exec, s[2:3]
	s_movk_i32 s2, 0x4f
	v_mul_lo_u16_sdwa v35, v77, s2 dst_sel:DWORD dst_unused:UNUSED_PAD src0_sel:BYTE_0 src1_sel:DWORD
	v_lshrrev_b16_e32 v35, 12, v35
	v_mov_b32_e32 v1, 0
	v_mul_lo_u16_sdwa v6, v78, s2 dst_sel:DWORD dst_unused:UNUSED_PAD src0_sel:BYTE_0 src1_sel:DWORD
	v_mul_lo_u16_e32 v35, 52, v35
	s_movk_i32 s2, 0x4ec5
	v_lshlrev_b64 v[7:8], 3, v[0:1]
	v_lshrrev_b16_e32 v6, 12, v6
	v_sub_u16_e32 v35, v77, v35
	v_mul_u32_u24_sdwa v97, v75, s2 dst_sel:DWORD dst_unused:UNUSED_PAD src0_sel:WORD_0 src1_sel:DWORD
	v_mul_lo_u16_e32 v6, 52, v6
	v_and_b32_e32 v96, 0xff, v35
	v_lshrrev_b32_e32 v35, 20, v97
	v_mov_b32_e32 v67, s9
	v_add_co_u32_e32 v9, vcc, s8, v7
	v_sub_u16_e32 v6, v78, v6
	v_mul_lo_u16_e32 v35, 52, v35
	v_addc_co_u32_e32 v10, vcc, v67, v8, vcc
	v_and_b32_e32 v6, 0xff, v6
	v_lshlrev_b32_e32 v50, 3, v96
	v_sub_u16_e32 v98, v75, v35
	v_mul_u32_u24_sdwa v101, v73, s2 dst_sel:DWORD dst_unused:UNUSED_PAD src0_sel:WORD_0 src1_sel:DWORD
	s_waitcnt lgkmcnt(0)
	; wave barrier
	s_waitcnt lgkmcnt(0)
	v_lshlrev_b32_e32 v49, 3, v6
	v_lshlrev_b32_e32 v51, 3, v98
	global_load_dwordx2 v[35:36], v[9:10], off offset:400
	global_load_dwordx2 v[43:44], v49, s[8:9] offset:400
	global_load_dwordx2 v[45:46], v50, s[8:9] offset:400
	;; [unrolled: 1-line block ×3, first 2 shown]
	v_lshrrev_b32_e32 v50, 20, v101
	v_mul_lo_u16_e32 v50, 52, v50
	v_mul_u32_u24_sdwa v103, v72, s2 dst_sel:DWORD dst_unused:UNUSED_PAD src0_sel:WORD_0 src1_sel:DWORD
	v_sub_u16_e32 v102, v73, v50
	v_lshrrev_b32_e32 v50, 20, v103
	v_mul_u32_u24_sdwa v99, v74, s2 dst_sel:DWORD dst_unused:UNUSED_PAD src0_sel:WORD_0 src1_sel:DWORD
	v_mul_lo_u16_e32 v50, 52, v50
	v_lshrrev_b32_e32 v49, 20, v99
	v_sub_u16_e32 v104, v72, v50
	v_mul_u32_u24_sdwa v50, v76, s2 dst_sel:DWORD dst_unused:UNUSED_PAD src0_sel:WORD_0 src1_sel:DWORD
	v_mul_lo_u16_e32 v49, 52, v49
	v_lshrrev_b32_e32 v51, 20, v50
	v_sub_u16_e32 v100, v74, v49
	v_mul_lo_u16_e32 v51, 52, v51
	v_lshlrev_b32_e32 v49, 3, v100
	v_lshlrev_b32_e32 v57, 3, v102
	v_sub_u16_e32 v105, v76, v51
	v_lshlrev_b32_e32 v58, 3, v104
	global_load_dwordx2 v[49:50], v49, s[8:9] offset:400
	v_lshlrev_b32_e32 v59, 3, v105
	global_load_dwordx2 v[51:52], v57, s[8:9] offset:400
	global_load_dwordx2 v[53:54], v58, s[8:9] offset:400
	;; [unrolled: 1-line block ×3, first 2 shown]
	v_mul_u32_u24_sdwa v57, v70, s2 dst_sel:DWORD dst_unused:UNUSED_PAD src0_sel:WORD_0 src1_sel:DWORD
	v_lshrrev_b32_e32 v57, 20, v57
	v_mul_lo_u16_e32 v57, 52, v57
	v_mul_u32_u24_sdwa v58, v69, s2 dst_sel:DWORD dst_unused:UNUSED_PAD src0_sel:WORD_0 src1_sel:DWORD
	v_sub_u16_e32 v106, v70, v57
	v_lshrrev_b32_e32 v58, 20, v58
	v_lshlrev_b32_e32 v57, 3, v106
	v_mul_lo_u16_e32 v58, 52, v58
	v_mul_u32_u24_sdwa v60, v68, s2 dst_sel:DWORD dst_unused:UNUSED_PAD src0_sel:WORD_0 src1_sel:DWORD
	v_sub_u16_e32 v107, v69, v58
	global_load_dwordx2 v[57:58], v57, s[8:9] offset:400
	v_lshrrev_b32_e32 v61, 20, v60
	v_lshlrev_b32_e32 v59, 3, v107
	global_load_dwordx2 v[59:60], v59, s[8:9] offset:400
	v_mul_lo_u16_e32 v61, 52, v61
	v_sub_u16_e32 v108, v68, v61
	v_lshlrev_b32_e32 v61, 3, v108
	global_load_dwordx2 v[61:62], v61, s[8:9] offset:400
	ds_read2_b32 v[63:64], v71 offset1:52
	ds_read2_b32 v[65:66], v37 offset0:112 offset1:164
	ds_read2_b32 v[76:77], v71 offset0:104 offset1:156
	;; [unrolled: 1-line block ×11, first 2 shown]
	v_lshl_add_u32 v6, v6, 2, 0
	v_add_u32_e32 v6, 0x200, v6
	s_waitcnt lgkmcnt(0)
	; wave barrier
	s_waitcnt lgkmcnt(0)
	s_movk_i32 s2, 0x680
	s_waitcnt vmcnt(10)
	v_mul_f32_e32 v109, v65, v36
	v_fma_f32 v109, v33, v35, -v109
	v_mul_f32_e32 v33, v33, v36
	v_fmac_f32_e32 v33, v65, v35
	v_mul_f32_e32 v65, v66, v36
	v_fma_f32 v65, v34, v35, -v65
	v_mul_f32_e32 v34, v34, v36
	s_waitcnt vmcnt(8)
	v_mul_f32_e32 v36, v79, v46
	v_fma_f32 v36, v32, v45, -v36
	v_mul_f32_e32 v32, v32, v46
	v_fmac_f32_e32 v34, v66, v35
	v_mul_f32_e32 v35, v78, v44
	v_fmac_f32_e32 v32, v79, v45
	v_fma_f32 v35, v31, v43, -v35
	v_sub_f32_e32 v35, v19, v35
	v_mul_f32_e32 v31, v31, v44
	v_fma_f32 v19, v19, 2.0, -v35
	v_fmac_f32_e32 v31, v78, v43
	s_waitcnt vmcnt(7)
	v_mul_f32_e32 v43, v82, v48
	v_sub_f32_e32 v36, v20, v36
	v_fma_f32 v43, v29, v47, -v43
	v_fma_f32 v20, v20, 2.0, -v36
	s_waitcnt vmcnt(5)
	v_mul_f32_e32 v45, v86, v52
	v_fma_f32 v45, v27, v51, -v45
	v_mul_f32_e32 v27, v27, v52
	v_fmac_f32_e32 v27, v86, v51
	v_sub_f32_e32 v51, v21, v109
	v_fma_f32 v21, v21, 2.0, -v51
	v_sub_f32_e32 v52, v22, v65
	v_fma_f32 v22, v22, 2.0, -v52
	ds_write2_b32 v71, v21, v51 offset1:52
	ds_write2_b32 v71, v22, v52 offset0:104 offset1:156
	ds_write2_b32 v6, v19, v35 offset0:80 offset1:132
	v_lshl_add_u32 v19, v96, 2, 0
	v_add_u32_e32 v19, 0x400, v19
	v_mul_f32_e32 v44, v83, v50
	v_sub_f32_e32 v43, v17, v43
	ds_write2_b32 v19, v20, v36 offset0:56 offset1:108
	v_lshl_add_u32 v20, v98, 2, 0
	v_fma_f32 v44, v30, v49, -v44
	v_fma_f32 v17, v17, 2.0, -v43
	v_add_u32_e32 v20, 0x400, v20
	v_sub_f32_e32 v44, v18, v44
	ds_write2_b32 v20, v17, v43 offset0:160 offset1:212
	v_lshl_add_u32 v17, v100, 2, 0
	v_fma_f32 v18, v18, 2.0, -v44
	v_add_u32_e32 v17, 0x800, v17
	s_waitcnt vmcnt(4)
	v_mul_f32_e32 v46, v87, v54
	v_sub_f32_e32 v45, v15, v45
	ds_write2_b32 v17, v18, v44 offset0:8 offset1:60
	v_lshl_add_u32 v18, v102, 2, 0
	v_mul_f32_e32 v29, v29, v48
	v_fma_f32 v46, v28, v53, -v46
	v_fma_f32 v15, v15, 2.0, -v45
	v_add_u32_e32 v18, 0x800, v18
	v_fmac_f32_e32 v29, v82, v47
	s_waitcnt vmcnt(3)
	v_mul_f32_e32 v47, v90, v56
	v_sub_f32_e32 v46, v16, v46
	ds_write2_b32 v18, v15, v45 offset0:112 offset1:164
	v_lshl_add_u32 v15, v104, 2, 0
	v_fma_f32 v47, v25, v55, -v47
	v_fma_f32 v16, v16, 2.0, -v46
	v_add_u32_e32 v15, 0xa00, v15
	s_waitcnt vmcnt(2)
	v_mul_f32_e32 v48, v91, v58
	v_sub_f32_e32 v47, v13, v47
	ds_write2_b32 v15, v16, v46 offset0:88 offset1:140
	v_lshl_add_u32 v16, v105, 2, 0
	v_mul_f32_e32 v30, v30, v50
	v_fma_f32 v48, v26, v57, -v48
	v_fma_f32 v13, v13, 2.0, -v47
	v_add_u32_e32 v16, 0xc00, v16
	v_fmac_f32_e32 v30, v83, v49
	s_waitcnt vmcnt(1)
	v_mul_f32_e32 v49, v94, v60
	v_sub_f32_e32 v48, v14, v48
	ds_write2_b32 v16, v13, v47 offset0:64 offset1:116
	v_lshl_add_u32 v13, v106, 2, 0
	v_fma_f32 v49, v23, v59, -v49
	v_fma_f32 v14, v14, 2.0, -v48
	v_add_u32_e32 v13, 0xc00, v13
	s_waitcnt vmcnt(0)
	v_mul_f32_e32 v50, v95, v62
	v_sub_f32_e32 v49, v11, v49
	ds_write2_b32 v13, v14, v48 offset0:168 offset1:220
	v_lshl_add_u32 v14, v107, 2, 0
	v_mul_f32_e32 v28, v28, v54
	v_mul_f32_e32 v25, v25, v56
	;; [unrolled: 1-line block ×4, first 2 shown]
	v_fma_f32 v50, v24, v61, -v50
	v_mul_f32_e32 v24, v24, v62
	v_fma_f32 v11, v11, 2.0, -v49
	v_add_u32_e32 v14, 0x1000, v14
	v_fmac_f32_e32 v28, v87, v53
	v_fmac_f32_e32 v25, v90, v55
	;; [unrolled: 1-line block ×5, first 2 shown]
	v_sub_f32_e32 v33, v63, v33
	v_sub_f32_e32 v50, v12, v50
	ds_write2_b32 v14, v11, v49 offset0:16 offset1:68
	v_lshl_add_u32 v11, v108, 2, 0
	v_fma_f32 v66, v63, 2.0, -v33
	v_sub_f32_e32 v34, v64, v34
	v_sub_f32_e32 v31, v76, v31
	;; [unrolled: 1-line block ×11, first 2 shown]
	v_fma_f32 v12, v12, 2.0, -v50
	v_add_u32_e32 v11, 0x1000, v11
	v_fma_f32 v65, v64, 2.0, -v34
	v_fma_f32 v76, v76, 2.0, -v31
	;; [unrolled: 1-line block ×11, first 2 shown]
	ds_write2_b32 v11, v12, v50 offset0:120 offset1:172
	s_waitcnt lgkmcnt(0)
	; wave barrier
	s_waitcnt lgkmcnt(0)
	ds_read2_b32 v[35:36], v71 offset1:52
	ds_read2_b32 v[43:44], v42 offset0:160 offset1:212
	ds_read2_b32 v[45:46], v39 offset0:64 offset1:116
	ds_read2_b32 v[47:48], v71 offset0:104 offset1:156
	ds_read2_b32 v[49:50], v37 offset0:8 offset1:60
	ds_read2_b32 v[51:52], v39 offset0:168 offset1:220
	ds_read2_b32 v[53:54], v40 offset0:80 offset1:132
	ds_read2_b32 v[55:56], v37 offset0:112 offset1:164
	ds_read2_b32 v[57:58], v41 offset0:16 offset1:68
	ds_read2_b32 v[59:60], v42 offset0:56 offset1:108
	ds_read2_b32 v[61:62], v38 offset0:88 offset1:140
	ds_read2_b32 v[63:64], v41 offset0:120 offset1:172
	s_waitcnt lgkmcnt(0)
	; wave barrier
	s_waitcnt lgkmcnt(0)
	ds_write2_b32 v71, v66, v33 offset1:52
	ds_write2_b32 v71, v65, v34 offset0:104 offset1:156
	ds_write2_b32 v6, v76, v31 offset0:80 offset1:132
	;; [unrolled: 1-line block ×11, first 2 shown]
	v_mov_b32_e32 v6, v1
	v_lshlrev_b64 v[5:6], 3, v[5:6]
	s_waitcnt lgkmcnt(0)
	v_add_co_u32_e32 v5, vcc, s8, v5
	v_addc_co_u32_e32 v6, vcc, v67, v6, vcc
	; wave barrier
	global_load_dwordx4 v[11:14], v[5:6], off offset:816
	v_mov_b32_e32 v5, v1
	v_lshlrev_b64 v[4:5], 3, v[4:5]
	v_add_co_u32_e32 v4, vcc, s8, v4
	v_addc_co_u32_e32 v5, vcc, v67, v5, vcc
	global_load_dwordx4 v[15:18], v[4:5], off offset:816
	v_lshrrev_b32_e32 v4, 21, v97
	v_mul_lo_u16_e32 v4, 0x68, v4
	v_sub_u16_e32 v6, v75, v4
	v_lshlrev_b32_e32 v4, 4, v6
	global_load_dwordx4 v[19:22], v4, s[8:9] offset:816
	v_lshrrev_b32_e32 v4, 21, v99
	v_mul_lo_u16_e32 v4, 0x68, v4
	v_sub_u16_e32 v67, v74, v4
	v_lshlrev_b32_e32 v4, 4, v67
	global_load_dwordx4 v[23:26], v4, s[8:9] offset:816
	;; [unrolled: 5-line block ×4, first 2 shown]
	ds_read2_b32 v[4:5], v71 offset1:52
	ds_read2_b32 v[65:66], v42 offset0:160 offset1:212
	ds_read2_b32 v[72:73], v39 offset0:64 offset1:116
	;; [unrolled: 1-line block ×11, first 2 shown]
	s_waitcnt lgkmcnt(0)
	; wave barrier
	s_waitcnt lgkmcnt(0)
	v_lshl_add_u32 v6, v6, 2, 0
	s_waitcnt vmcnt(5)
	v_mul_f32_e32 v94, v65, v12
	v_fma_f32 v94, v43, v11, -v94
	v_mul_f32_e32 v43, v43, v12
	v_fmac_f32_e32 v43, v65, v11
	v_mul_f32_e32 v65, v72, v14
	v_fma_f32 v65, v45, v13, -v65
	v_mul_f32_e32 v45, v45, v14
	v_fmac_f32_e32 v45, v72, v13
	s_waitcnt vmcnt(4)
	v_mul_f32_e32 v72, v66, v16
	v_fma_f32 v72, v44, v15, -v72
	v_mul_f32_e32 v44, v44, v16
	v_fmac_f32_e32 v44, v66, v15
	v_mul_f32_e32 v66, v73, v18
	v_fma_f32 v66, v46, v17, -v66
	v_mul_f32_e32 v46, v46, v18
	v_fmac_f32_e32 v46, v73, v17
	v_mul_f32_e32 v73, v76, v12
	v_mul_f32_e32 v12, v49, v12
	v_fma_f32 v73, v49, v11, -v73
	v_fmac_f32_e32 v12, v76, v11
	v_mul_f32_e32 v11, v78, v14
	v_mul_f32_e32 v14, v51, v14
	v_fma_f32 v11, v51, v13, -v11
	;; [unrolled: 4-line block ×4, first 2 shown]
	v_fmac_f32_e32 v18, v79, v17
	s_waitcnt vmcnt(3)
	v_mul_f32_e32 v17, v82, v20
	v_mul_f32_e32 v20, v55, v20
	v_fma_f32 v17, v55, v19, -v17
	v_fmac_f32_e32 v20, v82, v19
	v_mul_f32_e32 v19, v84, v22
	v_mul_f32_e32 v22, v57, v22
	v_fma_f32 v19, v57, v21, -v19
	v_fmac_f32_e32 v22, v84, v21
	s_waitcnt vmcnt(2)
	v_mul_f32_e32 v21, v83, v24
	v_mul_f32_e32 v24, v56, v24
	v_fma_f32 v21, v56, v23, -v21
	v_fmac_f32_e32 v24, v83, v23
	v_mul_f32_e32 v23, v85, v26
	v_mul_f32_e32 v26, v58, v26
	v_fma_f32 v23, v58, v25, -v23
	;; [unrolled: 9-line block ×3, first 2 shown]
	v_fmac_f32_e32 v30, v90, v29
	s_waitcnt vmcnt(0)
	v_mul_f32_e32 v29, v89, v32
	v_mul_f32_e32 v32, v62, v32
	v_fma_f32 v29, v62, v31, -v29
	v_fmac_f32_e32 v32, v89, v31
	v_mul_f32_e32 v31, v91, v34
	v_mul_f32_e32 v34, v64, v34
	v_add_f32_e32 v49, v94, v65
	v_fma_f32 v31, v64, v33, -v31
	v_fmac_f32_e32 v34, v91, v33
	v_add_f32_e32 v33, v35, v94
	v_fma_f32 v35, -0.5, v49, v35
	v_sub_f32_e32 v49, v43, v45
	v_mov_b32_e32 v50, v35
	v_fmac_f32_e32 v50, 0x3f5db3d7, v49
	v_fmac_f32_e32 v35, 0xbf5db3d7, v49
	v_add_f32_e32 v49, v4, v43
	v_add_f32_e32 v43, v43, v45
	v_fma_f32 v4, -0.5, v43, v4
	v_add_f32_e32 v49, v49, v45
	v_sub_f32_e32 v43, v94, v65
	v_mov_b32_e32 v45, v4
	v_add_f32_e32 v51, v72, v66
	v_fmac_f32_e32 v45, 0xbf5db3d7, v43
	v_fmac_f32_e32 v4, 0x3f5db3d7, v43
	v_add_f32_e32 v43, v36, v72
	v_fmac_f32_e32 v36, -0.5, v51
	v_sub_f32_e32 v51, v44, v46
	v_mov_b32_e32 v52, v36
	v_fmac_f32_e32 v52, 0x3f5db3d7, v51
	v_fmac_f32_e32 v36, 0xbf5db3d7, v51
	v_add_f32_e32 v51, v5, v44
	v_add_f32_e32 v44, v44, v46
	v_fmac_f32_e32 v5, -0.5, v44
	v_add_f32_e32 v51, v51, v46
	v_sub_f32_e32 v44, v72, v66
	v_mov_b32_e32 v46, v5
	v_add_f32_e32 v55, v73, v11
	v_fmac_f32_e32 v46, 0xbf5db3d7, v44
	v_fmac_f32_e32 v5, 0x3f5db3d7, v44
	v_add_f32_e32 v44, v47, v73
	v_fma_f32 v47, -0.5, v55, v47
	v_sub_f32_e32 v55, v12, v14
	v_mov_b32_e32 v56, v47
	v_fmac_f32_e32 v56, 0x3f5db3d7, v55
	v_fmac_f32_e32 v47, 0xbf5db3d7, v55
	v_add_f32_e32 v55, v74, v12
	v_add_f32_e32 v12, v12, v14
	v_fma_f32 v57, -0.5, v12, v74
	v_add_f32_e32 v44, v44, v11
	v_sub_f32_e32 v11, v73, v11
	v_mov_b32_e32 v58, v57
	v_add_f32_e32 v12, v13, v15
	v_fmac_f32_e32 v58, 0xbf5db3d7, v11
	v_fmac_f32_e32 v57, 0x3f5db3d7, v11
	v_add_f32_e32 v11, v48, v13
	v_fmac_f32_e32 v48, -0.5, v12
	v_add_f32_e32 v55, v55, v14
	v_sub_f32_e32 v12, v16, v18
	v_mov_b32_e32 v14, v48
	v_fmac_f32_e32 v14, 0x3f5db3d7, v12
	v_fmac_f32_e32 v48, 0xbf5db3d7, v12
	v_add_f32_e32 v12, v75, v16
	v_add_f32_e32 v61, v12, v18
	;; [unrolled: 1-line block ×3, first 2 shown]
	v_fmac_f32_e32 v75, -0.5, v12
	v_sub_f32_e32 v12, v13, v15
	v_add_f32_e32 v13, v17, v19
	v_fma_f32 v13, -0.5, v13, v53
	v_add_f32_e32 v11, v11, v15
	v_sub_f32_e32 v15, v20, v22
	v_mov_b32_e32 v16, v13
	v_mov_b32_e32 v18, v75
	v_fmac_f32_e32 v16, 0x3f5db3d7, v15
	v_fmac_f32_e32 v13, 0xbf5db3d7, v15
	v_add_f32_e32 v15, v80, v20
	v_fmac_f32_e32 v18, 0xbf5db3d7, v12
	v_fmac_f32_e32 v75, 0x3f5db3d7, v12
	v_add_f32_e32 v12, v53, v17
	v_add_f32_e32 v53, v15, v22
	;; [unrolled: 1-line block ×3, first 2 shown]
	v_fma_f32 v62, -0.5, v15, v80
	v_add_f32_e32 v12, v12, v19
	v_sub_f32_e32 v15, v17, v19
	v_mov_b32_e32 v17, v62
	v_add_f32_e32 v19, v21, v23
	v_fmac_f32_e32 v17, 0xbf5db3d7, v15
	v_fmac_f32_e32 v62, 0x3f5db3d7, v15
	v_add_f32_e32 v15, v54, v21
	v_fmac_f32_e32 v54, -0.5, v19
	v_sub_f32_e32 v19, v24, v26
	v_mov_b32_e32 v20, v54
	v_fmac_f32_e32 v20, 0x3f5db3d7, v19
	v_fmac_f32_e32 v54, 0xbf5db3d7, v19
	v_add_f32_e32 v19, v81, v24
	v_add_f32_e32 v63, v19, v26
	;; [unrolled: 1-line block ×3, first 2 shown]
	v_fmac_f32_e32 v81, -0.5, v19
	v_sub_f32_e32 v19, v21, v23
	v_add_f32_e32 v21, v25, v27
	v_fma_f32 v21, -0.5, v21, v59
	v_add_f32_e32 v15, v15, v23
	v_sub_f32_e32 v22, v28, v30
	v_mov_b32_e32 v23, v21
	v_mov_b32_e32 v64, v81
	v_fmac_f32_e32 v23, 0x3f5db3d7, v22
	v_fmac_f32_e32 v21, 0xbf5db3d7, v22
	v_add_f32_e32 v22, v86, v28
	v_fmac_f32_e32 v64, 0xbf5db3d7, v19
	v_fmac_f32_e32 v81, 0x3f5db3d7, v19
	v_add_f32_e32 v19, v59, v25
	v_add_f32_e32 v59, v22, v30
	;; [unrolled: 1-line block ×3, first 2 shown]
	v_fma_f32 v28, -0.5, v22, v86
	v_add_f32_e32 v19, v19, v27
	v_sub_f32_e32 v22, v25, v27
	v_mov_b32_e32 v27, v28
	v_add_f32_e32 v24, v29, v31
	v_fmac_f32_e32 v27, 0xbf5db3d7, v22
	v_fmac_f32_e32 v28, 0x3f5db3d7, v22
	v_add_f32_e32 v22, v60, v29
	v_fmac_f32_e32 v60, -0.5, v24
	v_sub_f32_e32 v24, v32, v34
	v_mov_b32_e32 v25, v60
	v_add_f32_e32 v33, v33, v65
	v_add_f32_e32 v43, v43, v66
	v_fmac_f32_e32 v25, 0x3f5db3d7, v24
	v_fmac_f32_e32 v60, 0xbf5db3d7, v24
	v_add_f32_e32 v24, v87, v32
	v_add_f32_e32 v65, v24, v34
	;; [unrolled: 1-line block ×3, first 2 shown]
	ds_write2_b32 v71, v33, v43 offset1:52
	ds_write2_b32 v71, v50, v52 offset0:104 offset1:156
	ds_write2_b32 v40, v35, v36 offset0:80 offset1:132
	;; [unrolled: 1-line block ×5, first 2 shown]
	v_lshl_add_u32 v48, v67, 2, 0
	v_fmac_f32_e32 v87, -0.5, v24
	v_add_u32_e32 v47, 0x800, v6
	v_add_u32_e32 v50, 0x800, v48
	v_lshl_add_u32 v52, v92, 2, 0
	v_lshl_add_u32 v56, v93, 2, 0
	v_add_f32_e32 v22, v22, v31
	v_sub_f32_e32 v24, v29, v31
	v_mov_b32_e32 v66, v87
	ds_write2_b32 v47, v12, v16 offset0:112 offset1:216
	ds_write_b32 v6, v13 offset:3328
	ds_write2_b32 v50, v15, v20 offset0:112 offset1:216
	ds_write_b32 v48, v54 offset:3328
	v_add_u32_e32 v54, 0xe00, v52
	v_add_u32_e32 v67, 0xe00, v56
	v_fmac_f32_e32 v66, 0xbf5db3d7, v24
	v_fmac_f32_e32 v87, 0x3f5db3d7, v24
	ds_write2_b32 v54, v19, v23 offset0:40 offset1:144
	ds_write_b32 v52, v21 offset:4576
	ds_write2_b32 v67, v22, v25 offset0:40 offset1:144
	ds_write_b32 v56, v60 offset:4576
	s_waitcnt lgkmcnt(0)
	; wave barrier
	s_waitcnt lgkmcnt(0)
	ds_read2_b32 v[11:12], v71 offset1:52
	ds_read2_b32 v[13:14], v37 offset0:112 offset1:164
	ds_read2_b32 v[15:16], v71 offset0:104 offset1:156
	;; [unrolled: 1-line block ×11, first 2 shown]
	s_waitcnt lgkmcnt(0)
	; wave barrier
	s_waitcnt lgkmcnt(0)
	ds_write2_b32 v71, v49, v51 offset1:52
	ds_write2_b32 v71, v45, v46 offset0:104 offset1:156
	ds_write2_b32 v40, v4, v5 offset0:80 offset1:132
	;; [unrolled: 1-line block ×6, first 2 shown]
	ds_write_b32 v6, v62 offset:3328
	ds_write2_b32 v50, v63, v64 offset0:112 offset1:216
	ds_write_b32 v48, v81 offset:3328
	ds_write2_b32 v54, v59, v27 offset0:40 offset1:144
	;; [unrolled: 2-line block ×3, first 2 shown]
	ds_write_b32 v56, v87 offset:4576
	s_waitcnt lgkmcnt(0)
	; wave barrier
	s_waitcnt lgkmcnt(0)
	global_load_dwordx2 v[4:5], v[9:10], off offset:2480
	global_load_dwordx2 v[45:46], v[9:10], off offset:2896
	;; [unrolled: 1-line block ×4, first 2 shown]
	v_add_co_u32_e32 v17, vcc, s2, v9
	v_addc_co_u32_e32 v18, vcc, 0, v10, vcc
	s_movk_i32 s2, 0x820
	global_load_dwordx2 v[51:52], v[17:18], off offset:2480
	v_add_co_u32_e32 v27, vcc, s2, v9
	v_addc_co_u32_e32 v28, vcc, 0, v10, vcc
	global_load_dwordx2 v[53:54], v[27:28], off offset:2480
	ds_read2_b32 v[55:56], v71 offset1:52
	ds_read2_b32 v[57:58], v37 offset0:112 offset1:164
	ds_read2_b32 v[59:60], v71 offset0:104 offset1:156
	;; [unrolled: 1-line block ×11, first 2 shown]
	s_waitcnt lgkmcnt(0)
	; wave barrier
	s_waitcnt vmcnt(5) lgkmcnt(0)
	v_mul_f32_e32 v6, v57, v5
	v_fma_f32 v6, v13, v4, -v6
	v_mul_f32_e32 v13, v13, v5
	v_fmac_f32_e32 v13, v57, v4
	s_waitcnt vmcnt(4)
	v_mul_f32_e32 v57, v58, v46
	v_fma_f32 v57, v14, v45, -v57
	v_mul_f32_e32 v14, v14, v46
	v_fmac_f32_e32 v14, v58, v45
	s_waitcnt vmcnt(3)
	;; [unrolled: 5-line block ×5, first 2 shown]
	v_mul_f32_e32 v65, v66, v54
	v_fma_f32 v65, v24, v53, -v65
	v_mul_f32_e32 v24, v24, v54
	v_fmac_f32_e32 v24, v66, v53
	v_mul_f32_e32 v66, v74, v5
	v_mul_f32_e32 v5, v29, v5
	v_fma_f32 v66, v29, v4, -v66
	v_fmac_f32_e32 v5, v74, v4
	v_mul_f32_e32 v4, v75, v46
	v_fma_f32 v4, v30, v45, -v4
	v_mul_f32_e32 v29, v30, v46
	v_mul_f32_e32 v30, v78, v48
	v_fma_f32 v30, v33, v47, -v30
	v_mul_f32_e32 v33, v33, v48
	v_fmac_f32_e32 v29, v75, v45
	v_fmac_f32_e32 v33, v78, v47
	v_mul_f32_e32 v45, v79, v50
	v_mul_f32_e32 v47, v83, v54
	v_fma_f32 v45, v34, v49, -v45
	v_mul_f32_e32 v34, v34, v50
	v_mul_f32_e32 v46, v82, v52
	v_fma_f32 v47, v44, v53, -v47
	v_mul_f32_e32 v44, v44, v54
	v_sub_f32_e32 v48, v55, v13
	v_sub_f32_e32 v50, v56, v14
	;; [unrolled: 1-line block ×7, first 2 shown]
	v_fmac_f32_e32 v34, v79, v49
	v_fma_f32 v46, v43, v51, -v46
	v_mul_f32_e32 v43, v43, v52
	v_fma_f32 v49, v55, 2.0, -v48
	v_fma_f32 v55, v60, 2.0, -v54
	v_sub_f32_e32 v60, v72, v5
	v_fma_f32 v5, v25, 2.0, -v24
	v_fma_f32 v25, v26, 2.0, -v4
	v_sub_f32_e32 v26, v31, v30
	v_sub_f32_e32 v30, v32, v45
	v_fmac_f32_e32 v43, v82, v51
	v_sub_f32_e32 v6, v11, v6
	v_sub_f32_e32 v13, v12, v57
	v_fma_f32 v51, v56, 2.0, -v50
	v_sub_f32_e32 v52, v59, v19
	v_sub_f32_e32 v19, v16, v61
	;; [unrolled: 1-line block ×6, first 2 shown]
	v_fma_f32 v29, v31, 2.0, -v26
	v_sub_f32_e32 v45, v77, v34
	v_fma_f32 v31, v32, 2.0, -v30
	v_sub_f32_e32 v32, v35, v46
	v_sub_f32_e32 v34, v36, v47
	v_fmac_f32_e32 v44, v83, v53
	v_fma_f32 v11, v11, 2.0, -v6
	v_fma_f32 v12, v12, 2.0, -v13
	;; [unrolled: 1-line block ×8, first 2 shown]
	v_sub_f32_e32 v64, v76, v33
	v_fma_f32 v33, v35, 2.0, -v32
	v_fma_f32 v35, v36, 2.0, -v34
	ds_write2_b32 v71, v11, v12 offset1:52
	ds_write2_b32 v42, v6, v13 offset0:56 offset1:108
	ds_write2_b32 v71, v15, v16 offset0:104 offset1:156
	;; [unrolled: 1-line block ×11, first 2 shown]
	s_waitcnt lgkmcnt(0)
	; wave barrier
	s_waitcnt lgkmcnt(0)
	ds_read2_b32 v[4:5], v71 offset1:52
	ds_read2_b32 v[11:12], v37 offset0:112 offset1:164
	ds_read2_b32 v[13:14], v71 offset0:104 offset1:156
	;; [unrolled: 1-line block ×11, first 2 shown]
	v_sub_f32_e32 v43, v80, v43
	v_sub_f32_e32 v44, v81, v44
	v_fma_f32 v57, v63, 2.0, -v56
	v_fma_f32 v61, v72, 2.0, -v60
	;; [unrolled: 1-line block ×7, first 2 shown]
	s_waitcnt lgkmcnt(0)
	; wave barrier
	s_waitcnt lgkmcnt(0)
	ds_write2_b32 v71, v49, v51 offset1:52
	ds_write2_b32 v42, v48, v50 offset0:56 offset1:108
	ds_write2_b32 v71, v53, v55 offset0:104 offset1:156
	;; [unrolled: 1-line block ×11, first 2 shown]
	s_waitcnt lgkmcnt(0)
	; wave barrier
	s_waitcnt lgkmcnt(0)
	s_and_saveexec_b64 s[2:3], s[0:1]
	s_cbranch_execz .LBB0_21
; %bb.20:
	v_add_co_u32_e32 v6, vcc, 0x1a0, v9
	s_mov_b64 s[4:5], vcc
	v_add_co_u32_e32 v61, vcc, 0x340, v9
	s_mov_b64 s[2:3], vcc
	;; [unrolled: 2-line block ×3, first 2 shown]
	v_add_co_u32_e32 v37, vcc, 0x2000, v9
	v_addc_co_u32_e32 v38, vcc, 0, v10, vcc
	global_load_dwordx2 v[39:40], v[37:38], off offset:1360
	global_load_dwordx2 v[41:42], v[37:38], off offset:944
	;; [unrolled: 1-line block ×4, first 2 shown]
	s_movk_i32 s6, 0x1000
	v_add_co_u32_e32 v37, vcc, s6, v9
	v_addc_co_u32_e32 v38, vcc, 0, v10, vcc
	global_load_dwordx2 v[47:48], v[37:38], off offset:3792
	v_add_co_u32_e32 v27, vcc, s6, v27
	v_addc_co_u32_e32 v28, vcc, 0, v28, vcc
	global_load_dwordx2 v[49:50], v[27:28], off offset:880
	global_load_dwordx2 v[51:52], v[37:38], off offset:3376
	v_addc_co_u32_e64 v60, vcc, 0, v10, s[4:5]
	v_add_co_u32_e32 v17, vcc, s6, v17
	v_add_u32_e32 v67, 0x800, v71
	v_addc_co_u32_e32 v18, vcc, 0, v18, vcc
	v_add_u32_e32 v9, 0x1000, v71
	v_add_u32_e32 v72, 0x400, v71
	ds_read2_b32 v[27:28], v67 offset0:8 offset1:60
	ds_read2_b32 v[53:54], v9 offset0:120 offset1:172
	ds_read2_b32 v[55:56], v72 offset0:160 offset1:212
	ds_read2_b32 v[57:58], v9 offset0:16 offset1:68
	global_load_dwordx2 v[17:18], v[17:18], off offset:880
	v_addc_co_u32_e64 v63, vcc, 0, v10, s[2:3]
	global_load_dwordx2 v[37:38], v[37:38], off offset:880
	v_add_co_u32_e32 v59, vcc, s6, v6
	v_addc_co_u32_e32 v60, vcc, 0, v60, vcc
	v_addc_co_u32_e64 v6, vcc, 0, v10, s[0:1]
	v_add_co_u32_e32 v9, vcc, s6, v62
	v_addc_co_u32_e32 v10, vcc, 0, v6, vcc
	global_load_dwordx2 v[9:10], v[9:10], off offset:880
	v_add_co_u32_e32 v61, vcc, s6, v61
	v_addc_co_u32_e32 v62, vcc, 0, v63, vcc
	global_load_dwordx2 v[63:64], v[61:62], off offset:880
	global_load_dwordx2 v[65:66], v[59:60], off offset:880
	v_or_b32_e32 v0, 0x340, v0
	s_mov_b32 s0, 0x1a41a41b
	s_movk_i32 s7, 0x2000
	s_movk_i32 s1, 0x270
	s_waitcnt vmcnt(11) lgkmcnt(2)
	v_mul_f32_e32 v6, v39, v54
	v_mul_f32_e32 v54, v40, v54
	v_fmac_f32_e32 v6, v36, v40
	s_waitcnt vmcnt(10)
	v_mul_f32_e32 v59, v41, v53
	v_mul_f32_e32 v53, v42, v53
	s_waitcnt vmcnt(9) lgkmcnt(0)
	v_mul_f32_e32 v60, v43, v58
	v_mul_f32_e32 v58, v44, v58
	v_fma_f32 v39, v36, v39, -v54
	v_sub_f32_e32 v36, v28, v6
	s_waitcnt vmcnt(8)
	v_mul_f32_e32 v6, v45, v57
	v_fmac_f32_e32 v59, v35, v42
	v_fma_f32 v41, v35, v41, -v53
	v_fmac_f32_e32 v60, v32, v44
	v_fma_f32 v32, v32, v43, -v58
	v_sub_f32_e32 v35, v34, v39
	v_fmac_f32_e32 v6, v31, v46
	v_sub_f32_e32 v40, v27, v59
	v_sub_f32_e32 v39, v33, v41
	;; [unrolled: 1-line block ×4, first 2 shown]
	v_fma_f32 v43, v34, 2.0, -v35
	v_sub_f32_e32 v54, v55, v6
	v_add_u32_e32 v34, 0xc00, v71
	v_fma_f32 v44, v28, 2.0, -v36
	v_fma_f32 v28, v27, 2.0, -v40
	;; [unrolled: 1-line block ×6, first 2 shown]
	ds_read2_b32 v[55:56], v34 offset0:168 offset1:220
	v_mul_f32_e32 v6, v46, v57
	v_fma_f32 v6, v31, v45, -v6
	ds_read2_b32 v[45:46], v72 offset0:56 offset1:108
	v_sub_f32_e32 v53, v29, v6
	s_waitcnt vmcnt(7) lgkmcnt(1)
	v_mul_f32_e32 v6, v47, v56
	v_fmac_f32_e32 v6, v26, v48
	v_fma_f32 v29, v29, 2.0, -v53
	s_waitcnt lgkmcnt(0)
	v_sub_f32_e32 v57, v46, v6
	v_mul_f32_e32 v6, v48, v56
	v_fma_f32 v6, v26, v47, -v6
	v_sub_f32_e32 v56, v24, v6
	s_waitcnt vmcnt(5)
	v_mul_f32_e32 v6, v51, v55
	v_fmac_f32_e32 v6, v25, v52
	v_sub_f32_e32 v26, v45, v6
	v_fma_f32 v59, v46, 2.0, -v57
	v_fma_f32 v58, v24, 2.0, -v56
	;; [unrolled: 1-line block ×3, first 2 shown]
	v_mul_f32_e32 v6, v52, v55
	ds_read2_b32 v[45:46], v34 offset0:64 offset1:116
	v_fma_f32 v6, v25, v51, -v6
	v_add_u32_e32 v25, 0x200, v71
	ds_read2_b32 v[47:48], v25 offset0:80 offset1:132
	v_sub_f32_e32 v25, v23, v6
	s_waitcnt lgkmcnt(1)
	v_mul_f32_e32 v6, v49, v46
	v_fmac_f32_e32 v6, v22, v50
	v_fma_f32 v23, v23, 2.0, -v25
	s_waitcnt lgkmcnt(0)
	v_sub_f32_e32 v51, v48, v6
	v_mul_f32_e32 v6, v50, v46
	v_fma_f32 v6, v22, v49, -v6
	v_sub_f32_e32 v50, v20, v6
	s_waitcnt vmcnt(4)
	v_mul_f32_e32 v6, v17, v45
	v_fmac_f32_e32 v6, v21, v18
	v_sub_f32_e32 v22, v47, v6
	v_mul_f32_e32 v6, v18, v45
	v_add_u32_e32 v18, 0xa00, v71
	ds_read2_b32 v[45:46], v18 offset0:88 offset1:140
	v_fma_f32 v6, v21, v17, -v6
	ds_read2_b32 v[17:18], v71 offset0:104 offset1:156
	v_sub_f32_e32 v21, v19, v6
	v_fma_f32 v60, v20, 2.0, -v50
	s_waitcnt vmcnt(2) lgkmcnt(1)
	v_mul_f32_e32 v6, v9, v46
	v_fmac_f32_e32 v6, v16, v10
	v_fma_f32 v20, v47, 2.0, -v22
	s_waitcnt lgkmcnt(0)
	v_sub_f32_e32 v47, v18, v6
	v_mul_f32_e32 v6, v10, v46
	v_fma_f32 v6, v16, v9, -v6
	v_sub_f32_e32 v46, v14, v6
	s_waitcnt vmcnt(1)
	v_mul_f32_e32 v6, v63, v45
	v_fmac_f32_e32 v6, v15, v64
	v_sub_f32_e32 v10, v17, v6
	v_fma_f32 v61, v48, 2.0, -v51
	v_fma_f32 v48, v14, 2.0, -v46
	;; [unrolled: 1-line block ×3, first 2 shown]
	ds_read2_b32 v[16:17], v67 offset0:112 offset1:164
	v_mul_f32_e32 v6, v64, v45
	v_fma_f32 v6, v15, v63, -v6
	ds_read2_b32 v[62:63], v71 offset1:52
	v_sub_f32_e32 v9, v13, v6
	s_waitcnt vmcnt(0) lgkmcnt(1)
	v_mul_f32_e32 v6, v65, v17
	v_mul_f32_e32 v15, v66, v17
	v_fmac_f32_e32 v6, v12, v66
	v_fma_f32 v12, v12, v65, -v15
	v_sub_f32_e32 v17, v5, v12
	v_mul_f32_e32 v12, v37, v16
	v_mul_f32_e32 v15, v38, v16
	v_fmac_f32_e32 v12, v11, v38
	v_fma_f32 v11, v11, v37, -v15
	v_fma_f32 v49, v18, 2.0, -v47
	s_waitcnt lgkmcnt(0)
	v_sub_f32_e32 v18, v63, v6
	v_sub_f32_e32 v12, v62, v12
	;; [unrolled: 1-line block ×3, first 2 shown]
	v_fma_f32 v6, v63, 2.0, -v18
	v_fma_f32 v63, v62, 2.0, -v12
	;; [unrolled: 1-line block ×3, first 2 shown]
	v_mov_b32_e32 v4, s13
	v_add_co_u32_e32 v15, vcc, s12, v2
	v_addc_co_u32_e32 v16, vcc, v4, v3, vcc
	v_add_co_u32_e32 v2, vcc, v15, v7
	v_addc_co_u32_e32 v3, vcc, v16, v8, vcc
	v_add_co_u32_e32 v7, vcc, s6, v2
	v_fma_f32 v5, v5, 2.0, -v17
	v_addc_co_u32_e32 v8, vcc, 0, v3, vcc
	v_fma_f32 v19, v19, 2.0, -v21
	v_fma_f32 v13, v13, 2.0, -v9
	global_store_dwordx2 v[2:3], v[62:63], off
	global_store_dwordx2 v[7:8], v[11:12], off offset:896
	global_store_dwordx2 v[2:3], v[5:6], off offset:416
	;; [unrolled: 1-line block ×8, first 2 shown]
	v_lshlrev_b64 v[4:5], 3, v[0:1]
	v_lshrrev_b32_e32 v0, 4, v70
	v_mul_hi_u32 v0, v0, s0
	v_add_co_u32_e32 v4, vcc, v15, v4
	v_addc_co_u32_e32 v5, vcc, v16, v5, vcc
	global_store_dwordx2 v[4:5], v[21:22], off
	global_store_dwordx2 v[2:3], v[60:61], off offset:2080
	global_store_dwordx2 v[7:8], v[50:51], off offset:2976
	;; [unrolled: 1-line block ×7, first 2 shown]
	v_add_co_u32_e32 v4, vcc, s7, v2
	v_lshrrev_b32_e32 v0, 2, v0
	v_addc_co_u32_e32 v5, vcc, 0, v3, vcc
	v_mul_u32_u24_e32 v0, 0x270, v0
	global_store_dwordx2 v[4:5], v[53:54], off offset:128
	v_lshlrev_b64 v[4:5], 3, v[0:1]
	v_lshrrev_b32_e32 v0, 4, v69
	v_mul_hi_u32 v0, v0, s0
	v_add_co_u32_e32 v2, vcc, v2, v4
	v_addc_co_u32_e32 v3, vcc, v3, v5, vcc
	global_store_dwordx2 v[2:3], v[32:33], off offset:3744
	v_add_co_u32_e32 v2, vcc, s7, v2
	v_lshrrev_b32_e32 v0, 2, v0
	v_addc_co_u32_e32 v3, vcc, 0, v3, vcc
	v_mad_u32_u24 v0, v0, s1, v69
	global_store_dwordx2 v[2:3], v[41:42], off offset:544
	v_lshlrev_b64 v[2:3], 3, v[0:1]
	v_lshrrev_b32_e32 v0, 4, v68
	v_mul_hi_u32 v0, v0, s0
	v_add_co_u32_e32 v2, vcc, v15, v2
	v_addc_co_u32_e32 v3, vcc, v16, v3, vcc
	v_lshrrev_b32_e32 v0, 2, v0
	v_mad_u32_u24 v0, v0, s1, v68
	global_store_dwordx2 v[2:3], v[27:28], off
	v_add_co_u32_e32 v2, vcc, s6, v2
	v_lshlrev_b64 v[0:1], 3, v[0:1]
	v_addc_co_u32_e32 v3, vcc, 0, v3, vcc
	v_add_co_u32_e32 v0, vcc, v15, v0
	v_addc_co_u32_e32 v1, vcc, v16, v1, vcc
	global_store_dwordx2 v[2:3], v[39:40], off offset:896
	global_store_dwordx2 v[0:1], v[43:44], off
	v_add_co_u32_e32 v0, vcc, 0x1000, v0
	v_addc_co_u32_e32 v1, vcc, 0, v1, vcc
	global_store_dwordx2 v[0:1], v[35:36], off offset:896
.LBB0_21:
	s_endpgm
	.section	.rodata,"a",@progbits
	.p2align	6, 0x0
	.amdhsa_kernel fft_rtc_fwd_len1248_factors_2_2_13_2_3_2_2_wgs_52_tpt_52_halfLds_sp_ip_CI_unitstride_sbrr_dirReg
		.amdhsa_group_segment_fixed_size 0
		.amdhsa_private_segment_fixed_size 0
		.amdhsa_kernarg_size 88
		.amdhsa_user_sgpr_count 6
		.amdhsa_user_sgpr_private_segment_buffer 1
		.amdhsa_user_sgpr_dispatch_ptr 0
		.amdhsa_user_sgpr_queue_ptr 0
		.amdhsa_user_sgpr_kernarg_segment_ptr 1
		.amdhsa_user_sgpr_dispatch_id 0
		.amdhsa_user_sgpr_flat_scratch_init 0
		.amdhsa_user_sgpr_private_segment_size 0
		.amdhsa_uses_dynamic_stack 0
		.amdhsa_system_sgpr_private_segment_wavefront_offset 0
		.amdhsa_system_sgpr_workgroup_id_x 1
		.amdhsa_system_sgpr_workgroup_id_y 0
		.amdhsa_system_sgpr_workgroup_id_z 0
		.amdhsa_system_sgpr_workgroup_info 0
		.amdhsa_system_vgpr_workitem_id 0
		.amdhsa_next_free_vgpr 127
		.amdhsa_next_free_sgpr 22
		.amdhsa_reserve_vcc 1
		.amdhsa_reserve_flat_scratch 0
		.amdhsa_float_round_mode_32 0
		.amdhsa_float_round_mode_16_64 0
		.amdhsa_float_denorm_mode_32 3
		.amdhsa_float_denorm_mode_16_64 3
		.amdhsa_dx10_clamp 1
		.amdhsa_ieee_mode 1
		.amdhsa_fp16_overflow 0
		.amdhsa_exception_fp_ieee_invalid_op 0
		.amdhsa_exception_fp_denorm_src 0
		.amdhsa_exception_fp_ieee_div_zero 0
		.amdhsa_exception_fp_ieee_overflow 0
		.amdhsa_exception_fp_ieee_underflow 0
		.amdhsa_exception_fp_ieee_inexact 0
		.amdhsa_exception_int_div_zero 0
	.end_amdhsa_kernel
	.text
.Lfunc_end0:
	.size	fft_rtc_fwd_len1248_factors_2_2_13_2_3_2_2_wgs_52_tpt_52_halfLds_sp_ip_CI_unitstride_sbrr_dirReg, .Lfunc_end0-fft_rtc_fwd_len1248_factors_2_2_13_2_3_2_2_wgs_52_tpt_52_halfLds_sp_ip_CI_unitstride_sbrr_dirReg
                                        ; -- End function
	.section	.AMDGPU.csdata,"",@progbits
; Kernel info:
; codeLenInByte = 15840
; NumSgprs: 26
; NumVgprs: 127
; ScratchSize: 0
; MemoryBound: 0
; FloatMode: 240
; IeeeMode: 1
; LDSByteSize: 0 bytes/workgroup (compile time only)
; SGPRBlocks: 3
; VGPRBlocks: 31
; NumSGPRsForWavesPerEU: 26
; NumVGPRsForWavesPerEU: 127
; Occupancy: 2
; WaveLimiterHint : 1
; COMPUTE_PGM_RSRC2:SCRATCH_EN: 0
; COMPUTE_PGM_RSRC2:USER_SGPR: 6
; COMPUTE_PGM_RSRC2:TRAP_HANDLER: 0
; COMPUTE_PGM_RSRC2:TGID_X_EN: 1
; COMPUTE_PGM_RSRC2:TGID_Y_EN: 0
; COMPUTE_PGM_RSRC2:TGID_Z_EN: 0
; COMPUTE_PGM_RSRC2:TIDIG_COMP_CNT: 0
	.type	__hip_cuid_a55d22f3a3095443,@object ; @__hip_cuid_a55d22f3a3095443
	.section	.bss,"aw",@nobits
	.globl	__hip_cuid_a55d22f3a3095443
__hip_cuid_a55d22f3a3095443:
	.byte	0                               ; 0x0
	.size	__hip_cuid_a55d22f3a3095443, 1

	.ident	"AMD clang version 19.0.0git (https://github.com/RadeonOpenCompute/llvm-project roc-6.4.0 25133 c7fe45cf4b819c5991fe208aaa96edf142730f1d)"
	.section	".note.GNU-stack","",@progbits
	.addrsig
	.addrsig_sym __hip_cuid_a55d22f3a3095443
	.amdgpu_metadata
---
amdhsa.kernels:
  - .args:
      - .actual_access:  read_only
        .address_space:  global
        .offset:         0
        .size:           8
        .value_kind:     global_buffer
      - .offset:         8
        .size:           8
        .value_kind:     by_value
      - .actual_access:  read_only
        .address_space:  global
        .offset:         16
        .size:           8
        .value_kind:     global_buffer
      - .actual_access:  read_only
        .address_space:  global
        .offset:         24
        .size:           8
        .value_kind:     global_buffer
      - .offset:         32
        .size:           8
        .value_kind:     by_value
      - .actual_access:  read_only
        .address_space:  global
        .offset:         40
        .size:           8
        .value_kind:     global_buffer
      - .actual_access:  read_only
        .address_space:  global
        .offset:         48
        .size:           8
        .value_kind:     global_buffer
      - .offset:         56
        .size:           4
        .value_kind:     by_value
      - .actual_access:  read_only
        .address_space:  global
        .offset:         64
        .size:           8
        .value_kind:     global_buffer
      - .actual_access:  read_only
        .address_space:  global
        .offset:         72
        .size:           8
        .value_kind:     global_buffer
      - .address_space:  global
        .offset:         80
        .size:           8
        .value_kind:     global_buffer
    .group_segment_fixed_size: 0
    .kernarg_segment_align: 8
    .kernarg_segment_size: 88
    .language:       OpenCL C
    .language_version:
      - 2
      - 0
    .max_flat_workgroup_size: 52
    .name:           fft_rtc_fwd_len1248_factors_2_2_13_2_3_2_2_wgs_52_tpt_52_halfLds_sp_ip_CI_unitstride_sbrr_dirReg
    .private_segment_fixed_size: 0
    .sgpr_count:     26
    .sgpr_spill_count: 0
    .symbol:         fft_rtc_fwd_len1248_factors_2_2_13_2_3_2_2_wgs_52_tpt_52_halfLds_sp_ip_CI_unitstride_sbrr_dirReg.kd
    .uniform_work_group_size: 1
    .uses_dynamic_stack: false
    .vgpr_count:     127
    .vgpr_spill_count: 0
    .wavefront_size: 64
amdhsa.target:   amdgcn-amd-amdhsa--gfx906
amdhsa.version:
  - 1
  - 2
...

	.end_amdgpu_metadata
